;; amdgpu-corpus repo=ROCm/rocFFT kind=compiled arch=gfx1030 opt=O3
	.text
	.amdgcn_target "amdgcn-amd-amdhsa--gfx1030"
	.amdhsa_code_object_version 6
	.protected	bluestein_single_fwd_len11200_dim1_half_op_CI_CI ; -- Begin function bluestein_single_fwd_len11200_dim1_half_op_CI_CI
	.globl	bluestein_single_fwd_len11200_dim1_half_op_CI_CI
	.p2align	8
	.type	bluestein_single_fwd_len11200_dim1_half_op_CI_CI,@function
bluestein_single_fwd_len11200_dim1_half_op_CI_CI: ; @bluestein_single_fwd_len11200_dim1_half_op_CI_CI
; %bb.0:
	s_load_dwordx4 s[8:11], s[4:5], 0x28
	v_mul_u32_u24_e32 v1, 0x125, v0
	v_mov_b32_e32 v85, 0
	s_mov_b32 s0, exec_lo
	v_lshrrev_b32_e32 v1, 17, v1
	v_add_nc_u32_e32 v84, s6, v1
	s_waitcnt lgkmcnt(0)
	v_cmpx_gt_u64_e64 s[8:9], v[84:85]
	s_cbranch_execz .LBB0_31
; %bb.1:
	s_clause 0x1
	s_load_dwordx4 s[0:3], s[4:5], 0x18
	s_load_dwordx2 s[6:7], s[4:5], 0x0
	v_mul_lo_u16 v1, 0x1c0, v1
	v_sub_nc_u16 v2, v0, v1
	v_and_b32_e32 v135, 0xffff, v2
	v_lshlrev_b32_e32 v113, 2, v135
	s_waitcnt lgkmcnt(0)
	s_load_dwordx4 s[12:15], s[0:1], 0x0
	s_clause 0x1
	global_load_dword v137, v113, s[6:7]
	global_load_dword v133, v113, s[6:7] offset:1792
	v_add_co_u32 v89, s0, s6, v113
	v_add_co_ci_u32_e64 v90, null, s7, 0, s0
	v_add_co_u32 v82, vcc_lo, 0x2800, v89
	v_add_co_ci_u32_e32 v83, vcc_lo, 0, v90, vcc_lo
	v_add_co_u32 v80, vcc_lo, 0x5000, v89
	v_add_co_ci_u32_e32 v81, vcc_lo, 0, v90, vcc_lo
	;; [unrolled: 2-line block ×3, first 2 shown]
	s_waitcnt lgkmcnt(0)
	v_mad_u64_u32 v[0:1], null, s14, v84, 0
	v_add_co_u32 v3, vcc_lo, 0x3000, v89
	v_mad_u64_u32 v[5:6], null, s12, v135, 0
	v_add_co_ci_u32_e32 v4, vcc_lo, 0, v90, vcc_lo
	v_add_co_u32 v7, vcc_lo, 0x5800, v89
	v_mad_u64_u32 v[11:12], null, s15, v84, v[1:2]
	v_add_co_ci_u32_e32 v8, vcc_lo, 0, v90, vcc_lo
	v_mad_u64_u32 v[14:15], null, s13, v135, v[6:7]
	v_add_co_u32 v9, vcc_lo, 0x8800, v89
	v_mov_b32_e32 v1, v11
	v_add_co_ci_u32_e32 v10, vcc_lo, 0, v90, vcc_lo
	v_add_co_u32 v12, vcc_lo, 0x800, v89
	v_mov_b32_e32 v6, v14
	v_lshlrev_b64 v[0:1], 2, v[0:1]
	v_add_co_ci_u32_e32 v13, vcc_lo, 0, v90, vcc_lo
	s_mul_i32 s1, s13, 0xaf0
	v_lshlrev_b64 v[5:6], 2, v[5:6]
	s_mul_hi_u32 s7, s12, 0xaf0
	v_add_co_u32 v0, vcc_lo, s10, v0
	v_add_co_ci_u32_e32 v1, vcc_lo, s11, v1, vcc_lo
	s_mul_i32 s0, s12, 0xaf0
	v_add_co_u32 v0, vcc_lo, v0, v5
	s_add_i32 s1, s7, s1
	v_add_co_ci_u32_e32 v1, vcc_lo, v1, v6, vcc_lo
	s_lshl_b64 s[14:15], s[0:1], 2
	s_mul_hi_u32 s9, s12, 0xffffe0f0
	v_add_co_u32 v5, vcc_lo, v0, s14
	v_add_co_ci_u32_e32 v6, vcc_lo, s15, v1, vcc_lo
	s_mul_i32 s8, s13, 0xffffe0f0
	v_add_co_u32 v14, vcc_lo, v5, s14
	v_add_co_ci_u32_e32 v15, vcc_lo, s15, v6, vcc_lo
	s_sub_i32 s0, s9, s12
	v_add_co_u32 v16, vcc_lo, v14, s14
	s_mul_i32 s6, s12, 0xffffe0f0
	s_add_i32 s7, s0, s8
	v_add_co_ci_u32_e32 v17, vcc_lo, s15, v15, vcc_lo
	s_lshl_b64 s[0:1], s[6:7], 2
	s_clause 0x2
	global_load_dword v138, v[82:83], off offset:960
	global_load_dword v136, v[80:81], off offset:1920
	;; [unrolled: 1-line block ×3, first 2 shown]
	v_add_co_u32 v18, vcc_lo, v16, s0
	v_add_co_ci_u32_e32 v19, vcc_lo, s1, v17, vcc_lo
	s_clause 0x3
	global_load_dword v132, v[3:4], off offset:704
	global_load_dword v131, v[7:8], off offset:1664
	;; [unrolled: 1-line block ×4, first 2 shown]
	v_add_co_u32 v3, vcc_lo, v18, s14
	v_add_co_ci_u32_e32 v4, vcc_lo, s15, v19, vcc_lo
	s_load_dwordx2 s[6:7], s[4:5], 0x38
	v_add_co_u32 v7, vcc_lo, v3, s14
	v_add_co_ci_u32_e32 v8, vcc_lo, s15, v4, vcc_lo
	v_add_co_u32 v9, vcc_lo, v7, s14
	v_add_co_ci_u32_e32 v10, vcc_lo, s15, v8, vcc_lo
	;; [unrolled: 2-line block ×3, first 2 shown]
	s_clause 0x4
	global_load_dword v13, v[0:1], off
	global_load_dword v20, v[5:6], off
	;; [unrolled: 1-line block ×9, first 2 shown]
	v_add_co_u32 v0, vcc_lo, v11, s14
	v_add_co_ci_u32_e32 v1, vcc_lo, s15, v12, vcc_lo
	v_add_co_u32 v3, vcc_lo, 0x3800, v89
	v_add_co_ci_u32_e32 v4, vcc_lo, 0, v90, vcc_lo
	;; [unrolled: 2-line block ×5, first 2 shown]
	global_load_dword v22, v[0:1], off
	global_load_dword v128, v[3:4], off offset:448
	global_load_dword v23, v[5:6], off
	global_load_dword v127, v[7:8], off offset:1408
	global_load_dword v24, v[9:10], off
	v_add_co_u32 v0, vcc_lo, 0x9000, v89
	v_add_co_ci_u32_e32 v1, vcc_lo, 0, v90, vcc_lo
	v_add_co_u32 v3, vcc_lo, v9, s0
	v_add_co_ci_u32_e32 v4, vcc_lo, s1, v10, vcc_lo
	;; [unrolled: 2-line block ×5, first 2 shown]
	global_load_dword v126, v[0:1], off offset:320
	global_load_dword v25, v[3:4], off
	global_load_dword v125, v[5:6], off offset:1280
	global_load_dword v26, v[7:8], off
	global_load_dword v124, v[9:10], off offset:192
	v_add_co_u32 v0, vcc_lo, v7, s14
	v_add_co_ci_u32_e32 v1, vcc_lo, s15, v8, vcc_lo
	v_add_co_u32 v3, vcc_lo, 0x6800, v89
	v_add_co_ci_u32_e32 v4, vcc_lo, 0, v90, vcc_lo
	;; [unrolled: 2-line block ×5, first 2 shown]
	global_load_dword v27, v[0:1], off
	global_load_dword v123, v[3:4], off offset:1152
	global_load_dword v28, v[5:6], off
	global_load_dword v122, v[7:8], off offset:64
	global_load_dword v29, v[11:12], off
	v_add_co_u32 v0, vcc_lo, 0x1800, v89
	v_add_co_ci_u32_e32 v1, vcc_lo, 0, v90, vcc_lo
	v_add_co_u32 v3, vcc_lo, v11, s14
	v_add_co_ci_u32_e32 v4, vcc_lo, s15, v12, vcc_lo
	global_load_dword v121, v[0:1], off offset:1024
	v_add_co_u32 v0, vcc_lo, v3, s14
	v_add_co_ci_u32_e32 v1, vcc_lo, s15, v4, vcc_lo
	v_add_co_u32 v5, vcc_lo, 0x7000, v89
	v_add_co_ci_u32_e32 v6, vcc_lo, 0, v90, vcc_lo
	v_add_co_u32 v11, vcc_lo, v0, s14
	v_add_co_ci_u32_e32 v12, vcc_lo, s15, v1, vcc_lo
	global_load_dword v30, v[3:4], off
	global_load_dword v120, v[9:10], off offset:1984
	global_load_dword v31, v[0:1], off
	global_load_dword v119, v[5:6], off offset:896
	;; [unrolled: 2-line block ×3, first 2 shown]
	v_add_co_u32 v0, vcc_lo, v11, s0
	v_add_co_ci_u32_e32 v1, vcc_lo, s1, v12, vcc_lo
	v_add_co_u32 v3, vcc_lo, 0x2000, v89
	v_add_co_ci_u32_e32 v4, vcc_lo, 0, v90, vcc_lo
	;; [unrolled: 2-line block ×5, first 2 shown]
	global_load_dword v11, v[0:1], off
	global_load_dword v117, v[3:4], off offset:768
	global_load_dword v12, v[5:6], off
	global_load_dword v116, v[7:8], off offset:1728
	global_load_dword v7, v[9:10], off
	v_add_co_u32 v0, vcc_lo, v9, s14
	v_add_co_ci_u32_e32 v1, vcc_lo, s15, v10, vcc_lo
	v_add_co_u32 v3, vcc_lo, 0x7800, v89
	v_add_co_ci_u32_e32 v4, vcc_lo, 0, v90, vcc_lo
	v_add_co_u32 v5, vcc_lo, 0xa000, v89
	global_load_dword v8, v[0:1], off
	v_add_co_ci_u32_e32 v6, vcc_lo, 0, v90, vcc_lo
	s_clause 0x1
	global_load_dword v115, v[3:4], off offset:640
	global_load_dword v114, v[5:6], off offset:1600
	v_add_nc_u32_e32 v3, 0xc0, v113
	v_add_nc_u32_e32 v4, 0x80, v113
	;; [unrolled: 1-line block ×3, first 2 shown]
	s_load_dwordx4 s[8:11], s[2:3], 0x0
	v_cmp_gt_u16_e32 vcc_lo, 0x70, v2
	s_waitcnt vmcnt(38)
	v_lshrrev_b32_e32 v6, 16, v13
	v_mul_f16_sdwa v9, v137, v13 dst_sel:DWORD dst_unused:UNUSED_PAD src0_sel:WORD_1 src1_sel:DWORD
	s_waitcnt vmcnt(37)
	v_lshrrev_b32_e32 v33, 16, v20
	v_mul_f16_sdwa v34, v138, v20 dst_sel:DWORD dst_unused:UNUSED_PAD src0_sel:WORD_1 src1_sel:DWORD
	s_waitcnt vmcnt(35)
	v_mul_f16_sdwa v35, v134, v15 dst_sel:DWORD dst_unused:UNUSED_PAD src0_sel:WORD_1 src1_sel:DWORD
	v_mul_f16_sdwa v10, v137, v6 dst_sel:DWORD dst_unused:UNUSED_PAD src0_sel:WORD_1 src1_sel:DWORD
	v_fma_f16 v6, v137, v6, -v9
	v_mul_f16_sdwa v9, v138, v33 dst_sel:DWORD dst_unused:UNUSED_PAD src0_sel:WORD_1 src1_sel:DWORD
	v_fma_f16 v33, v138, v33, -v34
	v_mul_f16_sdwa v34, v136, v14 dst_sel:DWORD dst_unused:UNUSED_PAD src0_sel:WORD_1 src1_sel:DWORD
	v_fmac_f16_e32 v10, v137, v13
	v_lshrrev_b32_e32 v13, 16, v14
	v_fmac_f16_e32 v9, v138, v20
	v_lshrrev_b32_e32 v20, 16, v15
	v_pack_b32_f16 v6, v10, v6
	v_mul_f16_sdwa v10, v136, v13 dst_sel:DWORD dst_unused:UNUSED_PAD src0_sel:WORD_1 src1_sel:DWORD
	v_fma_f16 v13, v136, v13, -v34
	v_pack_b32_f16 v9, v9, v33
	s_waitcnt vmcnt(34)
	v_lshrrev_b32_e32 v33, 16, v16
	v_mul_f16_sdwa v34, v133, v16 dst_sel:DWORD dst_unused:UNUSED_PAD src0_sel:WORD_1 src1_sel:DWORD
	v_fmac_f16_e32 v10, v136, v14
	v_mul_f16_sdwa v14, v134, v20 dst_sel:DWORD dst_unused:UNUSED_PAD src0_sel:WORD_1 src1_sel:DWORD
	v_fma_f16 v20, v134, v20, -v35
	ds_write_b32 v113, v9 offset:11200
	v_pack_b32_f16 v9, v10, v13
	v_fmac_f16_e32 v14, v134, v15
	v_mul_f16_sdwa v10, v133, v33 dst_sel:DWORD dst_unused:UNUSED_PAD src0_sel:WORD_1 src1_sel:DWORD
	s_waitcnt vmcnt(33)
	v_lshrrev_b32_e32 v15, 16, v17
	v_fma_f16 v13, v133, v33, -v34
	v_mul_f16_sdwa v33, v132, v17 dst_sel:DWORD dst_unused:UNUSED_PAD src0_sel:WORD_1 src1_sel:DWORD
	ds_write_b32 v113, v9 offset:22400
	v_pack_b32_f16 v9, v14, v20
	v_fmac_f16_e32 v10, v133, v16
	v_mul_f16_sdwa v14, v132, v15 dst_sel:DWORD dst_unused:UNUSED_PAD src0_sel:WORD_1 src1_sel:DWORD
	s_waitcnt vmcnt(32)
	v_lshrrev_b32_e32 v16, 16, v18
	v_mul_f16_sdwa v20, v131, v18 dst_sel:DWORD dst_unused:UNUSED_PAD src0_sel:WORD_1 src1_sel:DWORD
	v_fma_f16 v15, v132, v15, -v33
	ds_write_b32 v113, v9 offset:33600
	v_pack_b32_f16 v9, v10, v13
	v_fmac_f16_e32 v14, v132, v17
	v_mul_f16_sdwa v10, v131, v16 dst_sel:DWORD dst_unused:UNUSED_PAD src0_sel:WORD_1 src1_sel:DWORD
	v_fma_f16 v13, v131, v16, -v20
	s_waitcnt vmcnt(31)
	v_lshrrev_b32_e32 v16, 16, v19
	v_mul_f16_sdwa v17, v130, v19 dst_sel:DWORD dst_unused:UNUSED_PAD src0_sel:WORD_1 src1_sel:DWORD
	ds_write2st64_b32 v113, v6, v9 offset1:7
	v_pack_b32_f16 v6, v14, v15
	v_fmac_f16_e32 v10, v131, v18
	v_mul_f16_sdwa v9, v130, v16 dst_sel:DWORD dst_unused:UNUSED_PAD src0_sel:WORD_1 src1_sel:DWORD
	s_waitcnt vmcnt(30)
	v_lshrrev_b32_e32 v14, 16, v21
	v_fma_f16 v15, v130, v16, -v17
	v_mul_f16_sdwa v16, v129, v21 dst_sel:DWORD dst_unused:UNUSED_PAD src0_sel:WORD_1 src1_sel:DWORD
	v_pack_b32_f16 v10, v10, v13
	v_fmac_f16_e32 v9, v130, v19
	v_mul_f16_sdwa v13, v129, v14 dst_sel:DWORD dst_unused:UNUSED_PAD src0_sel:WORD_1 src1_sel:DWORD
	s_waitcnt vmcnt(29)
	v_lshrrev_b32_e32 v17, 16, v22
	v_fma_f16 v14, v129, v14, -v16
	s_waitcnt vmcnt(28)
	v_mul_f16_sdwa v16, v128, v22 dst_sel:DWORD dst_unused:UNUSED_PAD src0_sel:WORD_1 src1_sel:DWORD
	v_pack_b32_f16 v9, v9, v15
	v_fmac_f16_e32 v13, v129, v21
	v_mul_f16_sdwa v15, v128, v17 dst_sel:DWORD dst_unused:UNUSED_PAD src0_sel:WORD_1 src1_sel:DWORD
	s_waitcnt vmcnt(27)
	v_lshrrev_b32_e32 v18, 16, v23
	v_fma_f16 v16, v128, v17, -v16
	s_waitcnt vmcnt(26)
	v_mul_f16_sdwa v17, v127, v23 dst_sel:DWORD dst_unused:UNUSED_PAD src0_sel:WORD_1 src1_sel:DWORD
	v_pack_b32_f16 v13, v13, v14
	v_fmac_f16_e32 v15, v128, v22
	v_mul_f16_sdwa v14, v127, v18 dst_sel:DWORD dst_unused:UNUSED_PAD src0_sel:WORD_1 src1_sel:DWORD
	s_waitcnt vmcnt(25)
	v_lshrrev_b32_e32 v19, 16, v24
	s_waitcnt vmcnt(24)
	v_mul_f16_sdwa v20, v126, v24 dst_sel:DWORD dst_unused:UNUSED_PAD src0_sel:WORD_1 src1_sel:DWORD
	v_fma_f16 v17, v127, v18, -v17
	v_pack_b32_f16 v15, v15, v16
	v_fmac_f16_e32 v14, v127, v23
	v_mul_f16_sdwa v16, v126, v19 dst_sel:DWORD dst_unused:UNUSED_PAD src0_sel:WORD_1 src1_sel:DWORD
	v_fma_f16 v18, v126, v19, -v20
	s_waitcnt vmcnt(23)
	v_lshrrev_b32_e32 v19, 16, v25
	s_waitcnt vmcnt(22)
	v_mul_f16_sdwa v20, v125, v25 dst_sel:DWORD dst_unused:UNUSED_PAD src0_sel:WORD_1 src1_sel:DWORD
	ds_write2st64_b32 v3, v6, v15 offset0:50 offset1:57
	v_pack_b32_f16 v6, v14, v17
	v_fmac_f16_e32 v16, v126, v24
	v_mul_f16_sdwa v14, v125, v19 dst_sel:DWORD dst_unused:UNUSED_PAD src0_sel:WORD_1 src1_sel:DWORD
	v_fma_f16 v15, v125, v19, -v20
	s_waitcnt vmcnt(21)
	v_lshrrev_b32_e32 v17, 16, v26
	s_waitcnt vmcnt(20)
	v_mul_f16_sdwa v19, v124, v26 dst_sel:DWORD dst_unused:UNUSED_PAD src0_sel:WORD_1 src1_sel:DWORD
	ds_write2st64_b32 v4, v10, v6 offset0:94 offset1:101
	;; [unrolled: 9-line block ×3, first 2 shown]
	v_pack_b32_f16 v6, v14, v15
	v_fmac_f16_e32 v10, v124, v26
	v_mul_f16_sdwa v9, v123, v17 dst_sel:DWORD dst_unused:UNUSED_PAD src0_sel:WORD_1 src1_sel:DWORD
	s_waitcnt vmcnt(17)
	v_lshrrev_b32_e32 v15, 16, v28
	v_fma_f16 v14, v123, v17, -v18
	s_waitcnt vmcnt(16)
	v_mul_f16_sdwa v17, v122, v28 dst_sel:DWORD dst_unused:UNUSED_PAD src0_sel:WORD_1 src1_sel:DWORD
	ds_write2st64_b32 v113, v13, v6 offset0:14 offset1:21
	v_pack_b32_f16 v6, v10, v16
	v_fmac_f16_e32 v9, v123, v27
	v_mul_f16_sdwa v10, v122, v15 dst_sel:DWORD dst_unused:UNUSED_PAD src0_sel:WORD_1 src1_sel:DWORD
	s_waitcnt vmcnt(15)
	v_lshrrev_b32_e32 v13, 16, v29
	v_fma_f16 v15, v122, v15, -v17
	s_waitcnt vmcnt(14)
	v_mul_f16_sdwa v16, v121, v29 dst_sel:DWORD dst_unused:UNUSED_PAD src0_sel:WORD_1 src1_sel:DWORD
	v_pack_b32_f16 v9, v9, v14
	v_fmac_f16_e32 v10, v122, v28
	v_mul_f16_sdwa v14, v121, v13 dst_sel:DWORD dst_unused:UNUSED_PAD src0_sel:WORD_1 src1_sel:DWORD
	s_waitcnt vmcnt(13)
	v_lshrrev_b32_e32 v17, 16, v30
	v_fma_f16 v13, v121, v13, -v16
	s_waitcnt vmcnt(12)
	v_mul_f16_sdwa v16, v120, v30 dst_sel:DWORD dst_unused:UNUSED_PAD src0_sel:WORD_1 src1_sel:DWORD
	;; [unrolled: 8-line block ×3, first 2 shown]
	v_pack_b32_f16 v13, v14, v13
	v_fmac_f16_e32 v15, v120, v30
	v_mul_f16_sdwa v14, v119, v18 dst_sel:DWORD dst_unused:UNUSED_PAD src0_sel:WORD_1 src1_sel:DWORD
	s_waitcnt vmcnt(9)
	v_lshrrev_b32_e32 v19, 16, v32
	s_waitcnt vmcnt(8)
	v_mul_f16_sdwa v20, v118, v32 dst_sel:DWORD dst_unused:UNUSED_PAD src0_sel:WORD_1 src1_sel:DWORD
	v_fma_f16 v17, v119, v18, -v17
	v_pack_b32_f16 v15, v15, v16
	v_fmac_f16_e32 v14, v119, v31
	v_mul_f16_sdwa v16, v118, v19 dst_sel:DWORD dst_unused:UNUSED_PAD src0_sel:WORD_1 src1_sel:DWORD
	v_fma_f16 v18, v118, v19, -v20
	s_waitcnt vmcnt(7)
	v_lshrrev_b32_e32 v19, 16, v11
	s_waitcnt vmcnt(6)
	v_mul_f16_sdwa v20, v117, v11 dst_sel:DWORD dst_unused:UNUSED_PAD src0_sel:WORD_1 src1_sel:DWORD
	ds_write2st64_b32 v3, v6, v15 offset0:64 offset1:71
	v_pack_b32_f16 v6, v14, v17
	v_fmac_f16_e32 v16, v118, v32
	v_mul_f16_sdwa v14, v117, v19 dst_sel:DWORD dst_unused:UNUSED_PAD src0_sel:WORD_1 src1_sel:DWORD
	s_waitcnt vmcnt(5)
	v_lshrrev_b32_e32 v17, 16, v12
	v_fma_f16 v15, v117, v19, -v20
	s_waitcnt vmcnt(4)
	v_mul_f16_sdwa v19, v116, v12 dst_sel:DWORD dst_unused:UNUSED_PAD src0_sel:WORD_1 src1_sel:DWORD
	ds_write2st64_b32 v4, v9, v6 offset0:108 offset1:115
	s_waitcnt vmcnt(3)
	v_lshrrev_b32_e32 v9, 16, v7
	v_fmac_f16_e32 v14, v117, v11
	s_waitcnt vmcnt(2)
	v_lshrrev_b32_e32 v11, 16, v8
	v_pack_b32_f16 v6, v16, v18
	v_mul_f16_sdwa v16, v116, v17 dst_sel:DWORD dst_unused:UNUSED_PAD src0_sel:WORD_1 src1_sel:DWORD
	v_fma_f16 v17, v116, v17, -v19
	s_waitcnt vmcnt(1)
	v_mul_f16_sdwa v18, v115, v7 dst_sel:DWORD dst_unused:UNUSED_PAD src0_sel:WORD_1 src1_sel:DWORD
	v_mul_f16_sdwa v19, v115, v9 dst_sel:DWORD dst_unused:UNUSED_PAD src0_sel:WORD_1 src1_sel:DWORD
	s_waitcnt vmcnt(0)
	v_mul_f16_sdwa v20, v114, v11 dst_sel:DWORD dst_unused:UNUSED_PAD src0_sel:WORD_1 src1_sel:DWORD
	v_mul_f16_sdwa v21, v114, v8 dst_sel:DWORD dst_unused:UNUSED_PAD src0_sel:WORD_1 src1_sel:DWORD
	v_fmac_f16_e32 v16, v116, v12
	v_fma_f16 v9, v115, v9, -v18
	v_fmac_f16_e32 v19, v115, v7
	v_fmac_f16_e32 v20, v114, v8
	v_fma_f16 v7, v114, v11, -v21
	ds_write2st64_b32 v5, v10, v6 offset0:152 offset1:159
	v_pack_b32_f16 v6, v14, v15
	v_pack_b32_f16 v8, v16, v17
	;; [unrolled: 1-line block ×4, first 2 shown]
	ds_write2st64_b32 v113, v13, v6 offset0:28 offset1:35
	ds_write_b32 v113, v8 offset:20160
	ds_write_b32 v113, v9 offset:31360
	;; [unrolled: 1-line block ×3, first 2 shown]
	s_and_saveexec_b32 s2, vcc_lo
	s_cbranch_execz .LBB0_3
; %bb.2:
	v_add_co_u32 v0, s0, v0, s0
	v_add_co_ci_u32_e64 v1, s0, s1, v1, s0
	global_load_dword v2, v[82:83], off offset:512
	v_add_co_u32 v6, s0, v0, s14
	v_add_co_ci_u32_e64 v7, s0, s15, v1, s0
	global_load_dword v10, v[0:1], off
	v_add_co_u32 v8, s0, v6, s14
	v_add_co_ci_u32_e64 v9, s0, s15, v7, s0
	v_add_co_u32 v0, s0, v8, s14
	v_add_co_ci_u32_e64 v1, s0, s15, v9, s0
	global_load_dword v6, v[6:7], off
	global_load_dword v7, v[80:81], off offset:1472
	global_load_dword v8, v[8:9], off
	global_load_dword v9, v[0:1], off
	v_add_co_u32 v0, s0, 0xa800, v89
	v_add_co_ci_u32_e64 v1, s0, 0, v90, s0
	s_clause 0x1
	global_load_dword v11, v[78:79], off offset:384
	global_load_dword v0, v[0:1], off offset:1344
	s_waitcnt vmcnt(6)
	v_lshrrev_b32_e32 v1, 16, v10
	v_mul_f16_sdwa v12, v2, v10 dst_sel:DWORD dst_unused:UNUSED_PAD src0_sel:WORD_1 src1_sel:DWORD
	v_mul_f16_sdwa v13, v2, v1 dst_sel:DWORD dst_unused:UNUSED_PAD src0_sel:WORD_1 src1_sel:DWORD
	v_fma_f16 v1, v2, v1, -v12
	s_waitcnt vmcnt(5)
	v_lshrrev_b32_e32 v12, 16, v6
	s_waitcnt vmcnt(4)
	v_mul_f16_sdwa v14, v7, v6 dst_sel:DWORD dst_unused:UNUSED_PAD src0_sel:WORD_1 src1_sel:DWORD
	v_fmac_f16_e32 v13, v2, v10
	s_waitcnt vmcnt(3)
	v_lshrrev_b32_e32 v2, 16, v8
	s_waitcnt vmcnt(2)
	v_lshrrev_b32_e32 v10, 16, v9
	v_mul_f16_sdwa v15, v7, v12 dst_sel:DWORD dst_unused:UNUSED_PAD src0_sel:WORD_1 src1_sel:DWORD
	v_fma_f16 v12, v7, v12, -v14
	v_pack_b32_f16 v1, v13, v1
	s_waitcnt vmcnt(1)
	v_mul_f16_sdwa v14, v11, v8 dst_sel:DWORD dst_unused:UNUSED_PAD src0_sel:WORD_1 src1_sel:DWORD
	v_mul_f16_sdwa v16, v11, v2 dst_sel:DWORD dst_unused:UNUSED_PAD src0_sel:WORD_1 src1_sel:DWORD
	s_waitcnt vmcnt(0)
	v_mul_f16_sdwa v17, v0, v10 dst_sel:DWORD dst_unused:UNUSED_PAD src0_sel:WORD_1 src1_sel:DWORD
	v_mul_f16_sdwa v18, v0, v9 dst_sel:DWORD dst_unused:UNUSED_PAD src0_sel:WORD_1 src1_sel:DWORD
	v_fmac_f16_e32 v15, v7, v6
	v_fma_f16 v2, v11, v2, -v14
	v_fmac_f16_e32 v16, v11, v8
	v_fmac_f16_e32 v17, v0, v9
	v_fma_f16 v0, v0, v10, -v18
	v_pack_b32_f16 v6, v15, v12
	v_pack_b32_f16 v2, v16, v2
	;; [unrolled: 1-line block ×3, first 2 shown]
	ds_write_b32 v113, v1 offset:10752
	ds_write_b32 v113, v6 offset:21952
	;; [unrolled: 1-line block ×4, first 2 shown]
.LBB0_3:
	s_or_b32 exec_lo, exec_lo, s2
	s_waitcnt lgkmcnt(0)
	s_barrier
	buffer_gl0_inv
	ds_read2st64_b32 v[16:17], v113 offset1:7
	ds_read2st64_b32 v[18:19], v3 offset0:43 offset1:50
	ds_read2st64_b32 v[24:25], v4 offset0:87 offset1:94
	;; [unrolled: 1-line block ×11, first 2 shown]
                                        ; implicit-def: $vgpr11
                                        ; implicit-def: $vgpr26
                                        ; implicit-def: $vgpr6
                                        ; implicit-def: $vgpr27
	s_and_saveexec_b32 s0, vcc_lo
	s_cbranch_execz .LBB0_5
; %bb.4:
	ds_read_b32 v6, v113 offset:21952
	ds_read_b32 v26, v113 offset:33152
	ds_read_b32 v11, v113 offset:10752
	ds_read_b32 v27, v113 offset:44352
.LBB0_5:
	s_or_b32 exec_lo, exec_lo, s0
	s_waitcnt lgkmcnt(5)
	v_pk_add_f16 v46, v8, v21 neg_lo:[0,1] neg_hi:[0,1]
	v_pk_add_f16 v34, v7, v20 neg_lo:[0,1] neg_hi:[0,1]
	s_waitcnt lgkmcnt(4)
	v_pk_add_f16 v49, v13, v15 neg_lo:[0,1] neg_hi:[0,1]
	s_waitcnt lgkmcnt(1)
	v_pk_add_f16 v10, v1, v10 neg_lo:[0,1] neg_hi:[0,1]
	v_pk_add_f16 v24, v16, v24 neg_lo:[0,1] neg_hi:[0,1]
	v_lshrrev_b32_e32 v15, 16, v46
	v_pk_add_f16 v14, v12, v14 neg_lo:[0,1] neg_hi:[0,1]
	v_lshrrev_b32_e32 v20, 16, v34
	v_pk_add_f16 v21, v11, v26 neg_lo:[0,1] neg_hi:[0,1]
	s_waitcnt lgkmcnt(0)
	v_pk_add_f16 v5, v3, v5 neg_lo:[0,1] neg_hi:[0,1]
	v_add_f16_e32 v55, v15, v49
	v_pk_fma_f16 v26, v1, 2.0, v10 op_sel_hi:[1,0,1] neg_lo:[0,0,1] neg_hi:[0,0,1]
	v_lshrrev_b32_e32 v1, 16, v10
	v_add_co_u32 v36, s0, 0x380, v135
	v_add_co_ci_u32_e64 v28, null, 0, 0, s0
	v_add_co_u32 v37, s0, 0x540, v135
	v_pk_add_f16 v22, v18, v22 neg_lo:[0,1] neg_hi:[0,1]
	v_lshrrev_b32_e32 v29, 16, v24
	v_add_f16_e32 v48, v20, v14
	v_fma_f16 v59, v15, 2.0, -v55
	v_pk_fma_f16 v3, v3, 2.0, v5 op_sel_hi:[1,0,1] neg_lo:[0,0,1] neg_hi:[0,0,1]
	v_sub_f16_sdwa v15, v10, v5 dst_sel:DWORD dst_unused:UNUSED_PAD src0_sel:DWORD src1_sel:WORD_1
	v_add_f16_e32 v39, v1, v5
	v_pk_add_f16 v25, v17, v25 neg_lo:[0,1] neg_hi:[0,1]
	v_add_co_ci_u32_e64 v28, null, 0, 0, s0
	v_add_co_u32 v38, s0, 0x700, v135
	v_add_co_ci_u32_e64 v28, null, 0, 0, s0
	v_sub_f16_sdwa v28, v24, v22 dst_sel:DWORD dst_unused:UNUSED_PAD src0_sel:DWORD src1_sel:WORD_1
	v_pk_add_f16 v23, v19, v23 neg_lo:[0,1] neg_hi:[0,1]
	v_add_f16_e32 v31, v29, v22
	v_pk_add_f16 v50, v0, v9 neg_lo:[0,1] neg_hi:[0,1]
	v_fma_f16 v56, v20, 2.0, -v48
	v_pk_add_f16 v20, v6, v27 neg_lo:[0,1] neg_hi:[0,1]
	v_pk_fma_f16 v27, v11, 2.0, v21 op_sel_hi:[1,0,1] neg_lo:[0,0,1] neg_hi:[0,0,1]
	v_pk_add_f16 v9, v26, v3 neg_lo:[0,1] neg_hi:[0,1]
	v_fma_f16 v11, v10, 2.0, -v15
	v_fma_f16 v35, v1, 2.0, -v39
	v_lshrrev_b32_e32 v1, 16, v21
	v_pk_fma_f16 v3, v16, 2.0, v24 op_sel_hi:[1,0,1] neg_lo:[0,0,1] neg_hi:[0,0,1]
	v_pk_fma_f16 v10, v18, 2.0, v22 op_sel_hi:[1,0,1] neg_lo:[0,0,1] neg_hi:[0,0,1]
	v_lshrrev_b32_e32 v32, 16, v25
	v_fma_f16 v33, v24, 2.0, -v28
	v_fma_f16 v29, v29, 2.0, -v31
	v_pk_fma_f16 v6, v6, 2.0, v20 op_sel_hi:[1,0,1] neg_lo:[0,0,1] neg_hi:[0,0,1]
	v_sub_f16_sdwa v40, v21, v20 dst_sel:DWORD dst_unused:UNUSED_PAD src0_sel:DWORD src1_sel:WORD_1
	v_add_f16_e32 v41, v20, v1
	v_pk_fma_f16 v16, v17, 2.0, v25 op_sel_hi:[1,0,1] neg_lo:[0,0,1] neg_hi:[0,0,1]
	v_pk_fma_f16 v18, v19, 2.0, v23 op_sel_hi:[1,0,1] neg_lo:[0,0,1] neg_hi:[0,0,1]
	v_pk_add_f16 v20, v3, v10 neg_lo:[0,1] neg_hi:[0,1]
	v_sub_f16_sdwa v43, v25, v23 dst_sel:DWORD dst_unused:UNUSED_PAD src0_sel:DWORD src1_sel:WORD_1
	v_add_f16_e32 v44, v32, v23
	s_load_dwordx2 s[4:5], s[4:5], 0x8
	v_lshlrev_b32_e32 v111, 4, v135
	v_fma_f16 v17, v21, 2.0, -v40
	v_fma_f16 v42, v1, 2.0, -v41
	v_pk_add_f16 v24, v16, v18 neg_lo:[0,1] neg_hi:[0,1]
	v_pk_fma_f16 v18, v3, 2.0, v20 op_sel_hi:[1,0,1] neg_lo:[0,0,1] neg_hi:[0,0,1]
	v_pack_b32_f16 v21, v28, v31
	v_pack_b32_f16 v19, v33, v29
	v_pk_fma_f16 v1, v7, 2.0, v34 op_sel_hi:[1,0,1] neg_lo:[0,0,1] neg_hi:[0,0,1]
	v_pk_fma_f16 v3, v12, 2.0, v14 op_sel_hi:[1,0,1] neg_lo:[0,0,1] neg_hi:[0,0,1]
	v_add_co_u32 v51, null, 0x1c0, v135
	v_fma_f16 v45, v25, 2.0, -v43
	v_fma_f16 v32, v32, 2.0, -v44
	v_pk_add_f16 v53, v2, v4 neg_lo:[0,1] neg_hi:[0,1]
	v_lshrrev_b32_e32 v4, 16, v50
	v_sub_f16_sdwa v47, v34, v14 dst_sel:DWORD dst_unused:UNUSED_PAD src0_sel:DWORD src1_sel:WORD_1
	v_sub_f16_sdwa v54, v46, v49 dst_sel:DWORD dst_unused:UNUSED_PAD src0_sel:DWORD src1_sel:WORD_1
	s_waitcnt lgkmcnt(0)
	s_barrier
	buffer_gl0_inv
	ds_write_b128 v111, v[18:21]
	v_pk_add_f16 v20, v1, v3 neg_lo:[0,1] neg_hi:[0,1]
	v_pk_fma_f16 v3, v8, 2.0, v46 op_sel_hi:[1,0,1] neg_lo:[0,0,1] neg_hi:[0,0,1]
	v_pk_fma_f16 v7, v13, 2.0, v49 op_sel_hi:[1,0,1] neg_lo:[0,0,1] neg_hi:[0,0,1]
	v_sub_f16_sdwa v57, v50, v53 dst_sel:DWORD dst_unused:UNUSED_PAD src0_sel:DWORD src1_sel:WORD_1
	v_add_f16_e32 v60, v4, v53
	v_lshlrev_b32_e32 v112, 4, v51
	v_pk_fma_f16 v22, v16, 2.0, v24 op_sel_hi:[1,0,1] neg_lo:[0,0,1] neg_hi:[0,0,1]
	v_pack_b32_f16 v25, v43, v44
	v_pack_b32_f16 v23, v45, v32
	v_pk_fma_f16 v8, v0, 2.0, v50 op_sel_hi:[1,0,1] neg_lo:[0,0,1] neg_hi:[0,0,1]
	v_pk_fma_f16 v0, v2, 2.0, v53 op_sel_hi:[1,0,1] neg_lo:[0,0,1] neg_hi:[0,0,1]
	v_add_co_u32 v30, null, 0xa80, v135
	v_fma_f16 v52, v34, 2.0, -v47
	v_pk_add_f16 v6, v27, v6 neg_lo:[0,1] neg_hi:[0,1]
	v_fma_f16 v58, v46, 2.0, -v54
	v_pk_add_f16 v2, v3, v7 neg_lo:[0,1] neg_hi:[0,1]
	v_fma_f16 v61, v50, 2.0, -v57
	v_fma_f16 v5, v4, 2.0, -v60
	ds_write_b128 v112, v[22:25]
	v_pk_add_f16 v24, v8, v0 neg_lo:[0,1] neg_hi:[0,1]
	v_pk_fma_f16 v4, v27, 2.0, v6 op_sel_hi:[1,0,1] neg_lo:[0,0,1] neg_hi:[0,0,1]
	v_lshlrev_b32_e32 v142, 4, v36
	v_pk_fma_f16 v18, v1, 2.0, v20 op_sel_hi:[1,0,1] neg_lo:[0,0,1] neg_hi:[0,0,1]
	v_pack_b32_f16 v21, v47, v48
	v_pack_b32_f16 v19, v52, v56
	v_lshlrev_b32_e32 v143, 4, v37
	v_lshlrev_b32_e32 v145, 4, v38
	;; [unrolled: 1-line block ×3, first 2 shown]
	v_pk_fma_f16 v0, v3, 2.0, v2 op_sel_hi:[1,0,1] neg_lo:[0,0,1] neg_hi:[0,0,1]
	v_pack_b32_f16 v3, v54, v55
	v_pack_b32_f16 v1, v58, v59
	v_pk_fma_f16 v22, v8, 2.0, v24 op_sel_hi:[1,0,1] neg_lo:[0,0,1] neg_hi:[0,0,1]
	v_pack_b32_f16 v25, v57, v60
	v_pack_b32_f16 v23, v61, v5
	;; [unrolled: 3-line block ×3, first 2 shown]
	ds_write_b128 v142, v[18:21]
	ds_write_b128 v143, v[0:3]
	;; [unrolled: 1-line block ×3, first 2 shown]
	ds_write_b128 v111, v[7:10] offset:35840
	s_and_saveexec_b32 s0, vcc_lo
	s_cbranch_execz .LBB0_7
; %bb.6:
	v_perm_b32 v7, v41, v40, 0x5040100
	v_perm_b32 v5, v42, v17, 0x5040100
	ds_write_b128 v144, v[4:7]
.LBB0_7:
	s_or_b32 exec_lo, exec_lo, s0
	s_waitcnt lgkmcnt(0)
	s_barrier
	buffer_gl0_inv
	ds_read2st64_b32 v[13:14], v113 offset1:7
	ds_read2st64_b32 v[7:8], v113 offset0:14 offset1:25
	ds_read2st64_b32 v[23:24], v113 offset0:50 offset1:57
	;; [unrolled: 1-line block ×9, first 2 shown]
	ds_read_b32 v5, v113 offset:41984
	v_cmp_gt_u16_e64 s0, 0x100, v135
	s_and_saveexec_b32 s1, s0
	s_cbranch_execz .LBB0_9
; %bb.8:
	ds_read2st64_b32 v[11:12], v113 offset0:21 offset1:46
	ds_read2st64_b32 v[15:16], v113 offset0:71 offset1:96
	;; [unrolled: 1-line block ×3, first 2 shown]
	ds_read_b32 v40, v113 offset:43776
	s_waitcnt lgkmcnt(3)
	v_lshrrev_b32_e32 v35, 16, v11
	s_waitcnt lgkmcnt(2)
	v_lshrrev_b32_e32 v39, 16, v15
	;; [unrolled: 2-line block ×4, first 2 shown]
	v_mov_b32_e32 v6, v18
	v_mov_b32_e32 v4, v16
	;; [unrolled: 1-line block ×3, first 2 shown]
.LBB0_9:
	s_or_b32 exec_lo, exec_lo, s1
	v_and_b32_e32 v139, 3, v135
	s_waitcnt lgkmcnt(8)
	v_lshrrev_b32_e32 v12, 16, v23
	s_waitcnt lgkmcnt(7)
	v_lshrrev_b32_e32 v16, 16, v20
	;; [unrolled: 2-line block ×4, first 2 shown]
	v_mul_u32_u24_e32 v0, 6, v139
	s_waitcnt lgkmcnt(4)
	v_lshrrev_b32_e32 v44, 16, v31
	s_waitcnt lgkmcnt(3)
	v_lshrrev_b32_e32 v45, 16, v33
	v_lshrrev_b32_e32 v46, 16, v24
	s_waitcnt lgkmcnt(2)
	v_lshrrev_b32_e32 v47, 16, v29
	v_lshlrev_b32_e32 v10, 2, v0
	v_lshrrev_b32_e32 v48, 16, v26
	s_waitcnt lgkmcnt(1)
	v_lshrrev_b32_e32 v49, 16, v27
	v_lshrrev_b32_e32 v50, 16, v32
	;; [unrolled: 1-line block ×3, first 2 shown]
	s_clause 0x1
	global_load_dwordx4 v[0:3], v10, s[4:5]
	global_load_dwordx2 v[87:88], v10, s[4:5] offset:16
	v_lshrrev_b32_e32 v10, 16, v8
	v_lshrrev_b32_e32 v53, 16, v19
	;; [unrolled: 1-line block ×3, first 2 shown]
	s_waitcnt lgkmcnt(0)
	v_lshrrev_b32_e32 v57, 16, v5
	v_lshrrev_b32_e32 v54, 16, v30
	;; [unrolled: 1-line block ×6, first 2 shown]
	s_waitcnt vmcnt(0)
	s_barrier
	buffer_gl0_inv
	v_mul_f16_sdwa v61, v10, v0 dst_sel:DWORD dst_unused:UNUSED_PAD src0_sel:DWORD src1_sel:WORD_1
	v_mul_f16_sdwa v62, v8, v0 dst_sel:DWORD dst_unused:UNUSED_PAD src0_sel:DWORD src1_sel:WORD_1
	;; [unrolled: 1-line block ×40, first 2 shown]
	v_fma_f16 v8, v8, v0, -v61
	v_fmac_f16_e32 v62, v10, v0
	v_fma_f16 v10, v23, v1, -v63
	v_fmac_f16_e32 v64, v12, v1
	;; [unrolled: 2-line block ×16, first 2 shown]
	v_mul_f16_sdwa v110, v39, v1 dst_sel:DWORD dst_unused:UNUSED_PAD src0_sel:DWORD src1_sel:WORD_1
	v_mul_f16_sdwa v147, v42, v3 dst_sel:DWORD dst_unused:UNUSED_PAD src0_sel:DWORD src1_sel:WORD_1
	v_fma_f16 v30, v30, v2, -v100
	v_fmac_f16_e32 v101, v54, v2
	v_fma_f16 v21, v21, v3, -v102
	v_fmac_f16_e32 v103, v55, v3
	v_fmac_f16_e32 v140, v39, v1
	;; [unrolled: 1-line block ×3, first 2 shown]
	v_fma_f16 v31, v40, v88, -v151
	v_fmac_f16_e32 v152, v41, v88
	v_add_f16_e32 v32, v8, v20
	v_add_f16_e32 v33, v62, v72
	v_sub_f16_e32 v8, v8, v20
	v_sub_f16_e32 v20, v62, v72
	v_add_f16_e32 v34, v10, v18
	v_add_f16_e32 v39, v64, v70
	v_sub_f16_e32 v10, v10, v18
	v_sub_f16_e32 v18, v64, v70
	;; [unrolled: 4-line block ×6, first 2 shown]
	v_add_f16_e32 v48, v29, v5
	v_add_f16_e32 v49, v97, v107
	;; [unrolled: 1-line block ×4, first 2 shown]
	v_sub_f16_e32 v5, v29, v5
	v_sub_f16_e32 v29, v97, v107
	;; [unrolled: 1-line block ×4, first 2 shown]
	v_add_f16_e32 v53, v30, v21
	v_add_f16_e32 v54, v101, v103
	v_sub_f16_e32 v21, v21, v30
	v_sub_f16_e32 v30, v103, v101
	v_add_f16_e32 v61, v34, v32
	v_add_f16_e32 v62, v39, v33
	v_sub_f16_e32 v63, v34, v32
	v_sub_f16_e32 v64, v39, v33
	;; [unrolled: 1-line block ×6, first 2 shown]
	v_add_f16_e32 v65, v12, v10
	v_add_f16_e32 v66, v16, v18
	v_sub_f16_e32 v67, v12, v10
	v_sub_f16_e32 v68, v16, v18
	;; [unrolled: 1-line block ×4, first 2 shown]
	v_add_f16_e32 v69, v44, v42
	v_add_f16_e32 v70, v45, v43
	v_sub_f16_e32 v71, v44, v42
	v_sub_f16_e32 v72, v45, v43
	;; [unrolled: 1-line block ×6, first 2 shown]
	v_add_f16_e32 v73, v24, v23
	v_add_f16_e32 v74, v25, v26
	v_sub_f16_e32 v75, v24, v23
	v_sub_f16_e32 v76, v25, v26
	;; [unrolled: 1-line block ×4, first 2 shown]
	v_add_f16_e32 v77, v50, v48
	v_add_f16_e32 v85, v52, v49
	v_mul_f16_sdwa v108, v58, v0 dst_sel:DWORD dst_unused:UNUSED_PAD src0_sel:DWORD src1_sel:WORD_1
	v_mul_f16_sdwa v109, v9, v0 dst_sel:DWORD dst_unused:UNUSED_PAD src0_sel:DWORD src1_sel:WORD_1
	;; [unrolled: 1-line block ×4, first 2 shown]
	v_sub_f16_e32 v12, v8, v12
	v_sub_f16_e32 v16, v20, v16
	;; [unrolled: 1-line block ×10, first 2 shown]
	v_add_f16_e32 v92, v21, v19
	v_add_f16_e32 v93, v30, v28
	v_sub_f16_e32 v94, v21, v19
	v_sub_f16_e32 v95, v30, v28
	;; [unrolled: 1-line block ×4, first 2 shown]
	v_add_f16_e32 v40, v40, v61
	v_add_f16_e32 v41, v41, v62
	;; [unrolled: 1-line block ×4, first 2 shown]
	v_mul_f16_e32 v32, 0x3a52, v32
	v_mul_f16_e32 v33, 0x3a52, v33
	;; [unrolled: 1-line block ×8, first 2 shown]
	v_add_f16_e32 v46, v46, v69
	v_add_f16_e32 v47, v47, v70
	;; [unrolled: 1-line block ×4, first 2 shown]
	v_mul_f16_e32 v42, 0x3a52, v42
	v_mul_f16_e32 v43, 0x3a52, v43
	;; [unrolled: 1-line block ×8, first 2 shown]
	v_add_f16_e32 v53, v53, v77
	v_add_f16_e32 v54, v54, v85
	v_mul_f16_sdwa v141, v59, v2 dst_sel:DWORD dst_unused:UNUSED_PAD src0_sel:DWORD src1_sel:WORD_1
	v_mul_f16_sdwa v146, v4, v2 dst_sel:DWORD dst_unused:UNUSED_PAD src0_sel:DWORD src1_sel:WORD_1
	v_fma_f16 v9, v9, v0, -v108
	v_fmac_f16_e32 v109, v58, v0
	v_fma_f16 v15, v15, v1, -v110
	v_fma_f16 v6, v6, v87, -v149
	v_fmac_f16_e32 v150, v60, v87
	v_sub_f16_e32 v21, v5, v21
	v_sub_f16_e32 v30, v29, v30
	v_add_f16_e32 v5, v92, v5
	v_add_f16_e32 v29, v93, v29
	v_mul_f16_e32 v48, 0x3a52, v48
	v_mul_f16_e32 v49, 0x3a52, v49
	;; [unrolled: 1-line block ×7, first 2 shown]
	v_add_f16_e32 v98, v13, v40
	v_add_f16_sdwa v99, v13, v41 dst_sel:DWORD dst_unused:UNUSED_PAD src0_sel:WORD_1 src1_sel:DWORD
	v_fmamk_f16 v13, v34, 0x2b26, v32
	v_fmamk_f16 v34, v39, 0x2b26, v33
	v_fma_f16 v39, v63, 0x39e0, -v61
	v_fma_f16 v61, v64, 0x39e0, -v62
	;; [unrolled: 1-line block ×4, first 2 shown]
	v_fmamk_f16 v62, v12, 0x3574, v65
	v_fmamk_f16 v63, v16, 0x3574, v66
	v_fma_f16 v10, v10, 0x3b00, -v65
	v_fma_f16 v18, v18, 0x3b00, -v66
	;; [unrolled: 1-line block ×4, first 2 shown]
	v_add_f16_e32 v64, v14, v46
	v_add_f16_sdwa v65, v14, v47 dst_sel:DWORD dst_unused:UNUSED_PAD src0_sel:WORD_1 src1_sel:DWORD
	v_fmamk_f16 v14, v44, 0x2b26, v42
	v_fmamk_f16 v44, v45, 0x2b26, v43
	v_fma_f16 v45, v71, 0x39e0, -v69
	v_fma_f16 v66, v72, 0x39e0, -v70
	v_fmamk_f16 v67, v24, 0x3574, v73
	v_fmamk_f16 v68, v25, 0x3574, v74
	v_fma_f16 v23, v23, 0x3b00, -v73
	v_fma_f16 v26, v26, 0x3b00, -v74
	;; [unrolled: 1-line block ×4, first 2 shown]
	v_add_f16_e32 v69, v7, v53
	v_add_f16_sdwa v70, v7, v54 dst_sel:DWORD dst_unused:UNUSED_PAD src0_sel:WORD_1 src1_sel:DWORD
	v_fma_f16 v4, v4, v2, -v141
	v_fmac_f16_e32 v146, v59, v2
	v_fma_f16 v17, v17, v3, -v147
	v_add_f16_e32 v55, v9, v31
	v_add_f16_e32 v56, v109, v152
	;; [unrolled: 1-line block ×4, first 2 shown]
	v_mul_f16_e32 v85, 0x2b26, v52
	v_fma_f16 v42, v71, 0xb9e0, -v42
	v_fma_f16 v43, v72, 0xb9e0, -v43
	v_fmamk_f16 v7, v50, 0x2b26, v48
	v_fmamk_f16 v50, v52, 0x2b26, v49
	v_fma_f16 v52, v86, 0x39e0, -v77
	v_fma_f16 v48, v86, 0xb9e0, -v48
	v_fmamk_f16 v72, v21, 0x3574, v92
	v_fmamk_f16 v73, v30, 0x3574, v93
	v_fma_f16 v19, v19, 0x3b00, -v92
	v_fma_f16 v28, v28, 0x3b00, -v93
	v_fma_f16 v21, v21, 0xb574, -v94
	v_fma_f16 v30, v30, 0xb574, -v95
	v_fmamk_f16 v40, v40, 0xbcab, v98
	v_fmamk_f16 v41, v41, 0xbcab, v99
	v_fmac_f16_e32 v62, 0x370e, v8
	v_fmac_f16_e32 v63, 0x370e, v20
	;; [unrolled: 1-line block ×6, first 2 shown]
	v_fmamk_f16 v8, v46, 0xbcab, v64
	v_fmamk_f16 v20, v47, 0xbcab, v65
	v_fmac_f16_e32 v67, 0x370e, v22
	v_fmac_f16_e32 v68, 0x370e, v27
	;; [unrolled: 1-line block ×6, first 2 shown]
	v_fmamk_f16 v22, v53, 0xbcab, v69
	v_fmamk_f16 v27, v54, 0xbcab, v70
	v_sub_f16_e32 v9, v9, v31
	v_sub_f16_e32 v31, v109, v152
	;; [unrolled: 1-line block ×4, first 2 shown]
	v_add_f16_e32 v59, v4, v17
	v_add_f16_e32 v60, v146, v148
	v_sub_f16_e32 v4, v17, v4
	v_sub_f16_e32 v17, v148, v146
	v_add_f16_e32 v96, v57, v55
	v_add_f16_e32 v97, v58, v56
	v_fma_f16 v71, v91, 0x39e0, -v85
	v_fma_f16 v49, v91, 0xb9e0, -v49
	v_fmac_f16_e32 v72, 0x370e, v5
	v_fmac_f16_e32 v73, 0x370e, v29
	;; [unrolled: 1-line block ×6, first 2 shown]
	v_add_f16_e32 v5, v13, v40
	v_add_f16_e32 v13, v34, v41
	v_add_f16_e32 v29, v39, v40
	v_add_f16_e32 v34, v61, v41
	v_add_f16_e32 v32, v32, v40
	v_add_f16_e32 v33, v33, v41
	v_add_f16_e32 v14, v14, v8
	v_add_f16_e32 v39, v44, v20
	v_add_f16_e32 v40, v45, v8
	v_add_f16_e32 v41, v66, v20
	v_add_f16_e32 v8, v42, v8
	v_add_f16_e32 v20, v43, v20
	v_add_f16_e32 v7, v7, v22
	v_add_f16_e32 v42, v50, v27
	v_add_f16_e32 v43, v52, v22
	v_add_f16_e32 v22, v48, v22
	v_add_f16_e32 v44, v71, v27
	v_add_f16_e32 v27, v49, v27
	v_add_f16_e32 v45, v63, v5
	v_sub_f16_e32 v46, v13, v62
	v_add_f16_e32 v47, v16, v32
	v_sub_f16_e32 v48, v33, v12
	v_sub_f16_e32 v49, v29, v18
	v_add_f16_e32 v50, v10, v34
	v_add_f16_e32 v18, v18, v29
	v_sub_f16_e32 v29, v34, v10
	v_sub_f16_e32 v32, v32, v16
	v_add_f16_e32 v33, v12, v33
	v_sub_f16_e32 v34, v5, v63
	v_add_f16_e32 v61, v62, v13
	v_add_f16_e32 v62, v68, v14
	v_sub_f16_e32 v63, v39, v67
	v_sub_f16_e32 v71, v20, v24
	v_add_f16_e32 v75, v23, v41
	v_sub_f16_e32 v23, v41, v23
	v_add_f16_e32 v20, v24, v20
	;; [unrolled: 2-line block ×6, first 2 shown]
	v_sub_f16_e32 v10, v55, v59
	v_sub_f16_e32 v12, v56, v60
	;; [unrolled: 1-line block ×4, first 2 shown]
	v_add_f16_e32 v5, v4, v6
	v_add_f16_e32 v16, v17, v15
	v_sub_f16_e32 v42, v4, v6
	v_sub_f16_e32 v43, v17, v15
	v_add_f16_e32 v52, v59, v96
	v_add_f16_e32 v53, v60, v97
	v_sub_f16_e32 v15, v15, v31
	v_add_f16_e32 v66, v25, v8
	v_sub_f16_e32 v74, v40, v26
	v_add_f16_e32 v26, v26, v40
	v_sub_f16_e32 v25, v8, v25
	v_add_f16_e32 v40, v73, v7
	v_sub_f16_e32 v68, v27, v21
	v_add_f16_e32 v77, v19, v44
	v_sub_f16_e32 v19, v44, v19
	v_add_f16_e32 v21, v21, v27
	v_sub_f16_e32 v27, v7, v73
	v_sub_f16_e32 v7, v57, v55
	v_sub_f16_e32 v8, v58, v56
	;; [unrolled: 1-line block ×5, first 2 shown]
	v_add_f16_e32 v54, v5, v9
	v_add_f16_e32 v31, v16, v31
	;; [unrolled: 1-line block ×4, first 2 shown]
	v_mul_f16_e32 v9, 0x3a52, v10
	v_mul_f16_e32 v10, 0x3a52, v12
	;; [unrolled: 1-line block ×8, first 2 shown]
	v_fmamk_f16 v55, v13, 0x2b26, v9
	v_fma_f16 v56, v7, 0x39e0, -v11
	v_fma_f16 v57, v8, 0x39e0, -v12
	;; [unrolled: 1-line block ×4, first 2 shown]
	v_fmamk_f16 v8, v17, 0x3574, v35
	v_fma_f16 v11, v6, 0x3b00, -v16
	v_fma_f16 v6, v15, 0x3b00, -v35
	;; [unrolled: 1-line block ×3, first 2 shown]
	v_lshrrev_b32_e32 v35, 2, v135
	v_fmac_f16_e32 v8, 0x370e, v31
	v_fmamk_f16 v7, v44, 0x3574, v16
	v_fmac_f16_e32 v6, 0x370e, v31
	v_fmac_f16_e32 v9, 0x370e, v31
	v_mul_u32_u24_e32 v31, 28, v35
	v_fma_f16 v13, v44, 0xb574, -v42
	v_pack_b32_f16 v35, v98, v99
	v_pack_b32_f16 v42, v45, v46
	;; [unrolled: 1-line block ×3, first 2 shown]
	v_or_b32_e32 v31, v31, v139
	v_pack_b32_f16 v44, v49, v50
	v_pack_b32_f16 v18, v18, v29
	;; [unrolled: 1-line block ×4, first 2 shown]
	v_lshlrev_b32_e32 v146, 2, v31
	v_lshrrev_b32_e32 v31, 2, v51
	v_fmamk_f16 v52, v52, 0xbcab, v4
	v_fmamk_f16 v53, v53, 0xbcab, v5
	;; [unrolled: 1-line block ×3, first 2 shown]
	ds_write2_b32 v146, v35, v42 offset1:4
	v_mul_u32_u24_e32 v31, 28, v31
	ds_write2_b32 v146, v43, v44 offset0:8 offset1:12
	ds_write2_b32 v146, v18, v29 offset0:16 offset1:20
	ds_write_b32 v146, v32 offset:96
	v_lshrrev_b32_e32 v18, 2, v36
	v_add_f16_e32 v12, v55, v52
	v_add_f16_e32 v14, v14, v53
	v_or_b32_e32 v31, v31, v139
	v_add_f16_e32 v10, v56, v52
	v_mul_u32_u24_e32 v18, 28, v18
	v_add_f16_e32 v16, v57, v53
	v_add_f16_e32 v15, v58, v52
	;; [unrolled: 1-line block ×3, first 2 shown]
	v_fmac_f16_e32 v7, 0x370e, v54
	v_fmac_f16_e32 v11, 0x370e, v54
	;; [unrolled: 1-line block ×3, first 2 shown]
	v_lshlrev_b32_e32 v147, 2, v31
	v_pack_b32_f16 v29, v64, v65
	v_pack_b32_f16 v31, v62, v63
	v_or_b32_e32 v18, v18, v139
	v_pack_b32_f16 v32, v66, v71
	v_pack_b32_f16 v33, v74, v75
	;; [unrolled: 1-line block ×5, first 2 shown]
	v_add_f16_e32 v52, v6, v10
	v_sub_f16_e32 v55, v16, v11
	v_sub_f16_e32 v53, v15, v9
	v_add_f16_e32 v56, v13, v17
	v_sub_f16_e32 v54, v12, v8
	v_add_f16_e32 v57, v7, v14
	ds_write2_b32 v147, v29, v31 offset1:4
	ds_write2_b32 v147, v32, v33 offset0:8 offset1:12
	ds_write2_b32 v147, v23, v20 offset0:16 offset1:20
	ds_write_b32 v147, v24 offset:96
	v_lshlrev_b32_e32 v149, 2, v18
	v_pack_b32_f16 v18, v69, v70
	v_pack_b32_f16 v20, v40, v41
	v_lshrrev_b32_e32 v148, 2, v37
	v_pack_b32_f16 v23, v67, v68
	v_pack_b32_f16 v24, v76, v77
	;; [unrolled: 1-line block ×5, first 2 shown]
	ds_write2_b32 v149, v18, v20 offset1:4
	ds_write2_b32 v149, v23, v24 offset0:8 offset1:12
	ds_write2_b32 v149, v19, v21 offset0:16 offset1:20
	ds_write_b32 v149, v22 offset:96
	s_and_saveexec_b32 s1, s0
	s_cbranch_execz .LBB0_11
; %bb.10:
	v_mul_u32_u24_e32 v18, 28, v148
	v_sub_f16_e32 v7, v14, v7
	v_add_f16_e32 v8, v8, v12
	v_add_f16_e32 v11, v11, v16
	v_sub_f16_e32 v13, v17, v13
	v_or_b32_e32 v12, v18, v139
	v_add_f16_e32 v9, v9, v15
	v_sub_f16_e32 v6, v10, v6
	v_perm_b32 v4, v5, v4, 0x5040100
	v_pack_b32_f16 v5, v8, v7
	v_lshlrev_b32_e32 v7, 2, v12
	v_pack_b32_f16 v8, v9, v13
	v_pack_b32_f16 v6, v6, v11
	v_perm_b32 v9, v55, v52, 0x5040100
	v_perm_b32 v10, v56, v53, 0x5040100
	;; [unrolled: 1-line block ×3, first 2 shown]
	ds_write2_b32 v7, v4, v5 offset1:4
	ds_write2_b32 v7, v8, v6 offset0:8 offset1:12
	ds_write2_b32 v7, v9, v10 offset0:16 offset1:20
	ds_write_b32 v7, v11 offset:96
.LBB0_11:
	s_or_b32 exec_lo, exec_lo, s1
	v_lshrrev_b16 v4, 2, v135
	v_mov_b32_e32 v5, 0x4925
	v_lshrrev_b16 v6, 2, v51
	v_lshrrev_b16 v9, 2, v37
	;; [unrolled: 1-line block ×3, first 2 shown]
	s_waitcnt lgkmcnt(0)
	v_mul_u32_u24_sdwa v4, v4, v5 dst_sel:DWORD dst_unused:UNUSED_PAD src0_sel:WORD_0 src1_sel:DWORD
	v_mul_u32_u24_sdwa v7, v6, v5 dst_sel:DWORD dst_unused:UNUSED_PAD src0_sel:WORD_0 src1_sel:DWORD
	s_barrier
	buffer_gl0_inv
	v_lshrrev_b32_e32 v6, 17, v4
	v_lshrrev_b16 v4, 2, v36
	v_lshrrev_b32_e32 v7, 17, v7
	v_mul_lo_u16 v8, v6, 28
	v_mul_u32_u24_sdwa v4, v4, v5 dst_sel:DWORD dst_unused:UNUSED_PAD src0_sel:WORD_0 src1_sel:DWORD
	v_mul_lo_u16 v10, v7, 28
	v_sub_nc_u16 v15, v135, v8
	v_lshrrev_b32_e32 v11, 17, v4
	v_sub_nc_u16 v14, v51, v10
	v_mul_u32_u24_sdwa v8, v9, v5 dst_sel:DWORD dst_unused:UNUSED_PAD src0_sel:WORD_0 src1_sel:DWORD
	v_mul_u32_u24_sdwa v4, v12, v5 dst_sel:DWORD dst_unused:UNUSED_PAD src0_sel:WORD_0 src1_sel:DWORD
	v_lshlrev_b16 v5, 4, v15
	v_mul_lo_u16 v10, v11, 28
	v_lshlrev_b16 v12, 4, v14
	v_lshrrev_b32_e32 v9, 17, v8
	v_lshrrev_b32_e32 v8, 17, v4
	v_and_b32_e32 v4, 0xffff, v5
	v_sub_nc_u16 v13, v36, v10
	v_and_b32_e32 v10, 0xffff, v12
	v_mul_lo_u16 v18, v9, 28
	v_mul_lo_u16 v19, v8, 28
	v_add_co_u32 v4, s1, s4, v4
	v_add_co_ci_u32_e64 v5, null, s5, 0, s1
	v_add_co_u32 v16, s1, s4, v10
	v_add_co_ci_u32_e64 v17, null, s5, 0, s1
	v_lshlrev_b16 v10, 4, v13
	v_sub_nc_u16 v12, v37, v18
	s_clause 0x1
	global_load_dwordx4 v[32:35], v[4:5], off offset:96
	global_load_dwordx4 v[28:31], v[16:17], off offset:96
	v_mad_u16 v6, 0x8c, v6, v15
	v_and_b32_e32 v4, 0xffff, v10
	v_lshlrev_b16 v18, 4, v12
	v_sub_nc_u16 v10, v38, v19
	v_mad_u16 v7, 0x8c, v7, v14
	v_mad_u16 v11, 0x8c, v11, v13
	v_add_co_u32 v4, s1, s4, v4
	v_add_co_ci_u32_e64 v5, null, s5, 0, s1
	v_and_b32_e32 v16, 0xffff, v18
	v_lshlrev_b16 v17, 4, v10
	global_load_dwordx4 v[24:27], v[4:5], off offset:96
	v_add_co_u32 v4, s1, s4, v16
	v_add_co_ci_u32_e64 v5, null, s5, 0, s1
	v_and_b32_e32 v16, 0xffff, v17
	global_load_dwordx4 v[20:23], v[4:5], off offset:96
	v_add_co_u32 v4, s1, s4, v16
	v_add_co_ci_u32_e64 v5, null, s5, 0, s1
	v_cmp_gt_u16_e64 s1, 0xfc, v135
	global_load_dwordx4 v[16:19], v[4:5], off offset:96
	ds_read2st64_b32 v[4:5], v113 offset1:7
	ds_read2st64_b32 v[49:50], v113 offset0:28 offset1:35
	ds_read2st64_b32 v[45:46], v113 offset0:70 offset1:77
	ds_read2st64_b32 v[58:59], v113 offset0:98 offset1:105
	ds_read2st64_b32 v[62:63], v113 offset0:140 offset1:147
	ds_read2st64_b32 v[64:65], v113 offset0:42 offset1:49
	ds_read2st64_b32 v[66:67], v113 offset0:112 offset1:119
	ds_read2st64_b32 v[47:48], v113 offset0:14 offset1:21
	ds_read2st64_b32 v[68:69], v113 offset0:84 offset1:91
	ds_read2st64_b32 v[70:71], v113 offset0:154 offset1:161
	ds_read2st64_b32 v[72:73], v113 offset0:56 offset1:63
	ds_read2st64_b32 v[74:75], v113 offset0:126 offset1:133
	ds_read_b32 v76, v113 offset:43008
	s_waitcnt vmcnt(0) lgkmcnt(0)
	s_barrier
	buffer_gl0_inv
	v_lshrrev_b32_e32 v40, 16, v4
	v_lshrrev_b32_e32 v77, 16, v50
	v_lshrrev_b32_e32 v85, 16, v45
	v_lshrrev_b32_e32 v86, 16, v59
	v_lshrrev_b32_e32 v91, 16, v62
	v_lshrrev_b32_e32 v92, 16, v64
	v_lshrrev_b32_e32 v93, 16, v46
	v_lshrrev_b32_e32 v95, 16, v63
	v_lshrrev_b32_e32 v96, 16, v65
	v_lshrrev_b32_e32 v97, 16, v68
	v_lshrrev_b32_e32 v98, 16, v67
	v_lshrrev_b32_e32 v99, 16, v70
	v_lshrrev_b32_e32 v100, 16, v72
	v_lshrrev_b32_e32 v94, 16, v66
	v_lshrrev_b32_e32 v101, 16, v69
	v_lshrrev_b32_e32 v102, 16, v74
	v_lshrrev_b32_e32 v104, 16, v73
	v_lshrrev_b32_e32 v105, 16, v58
	v_lshrrev_b32_e32 v106, 16, v75
	v_lshrrev_b32_e32 v107, 16, v76
	v_lshrrev_b32_e32 v103, 16, v71
	v_lshrrev_b32_e32 v39, 16, v5
	v_lshrrev_b32_e32 v60, 16, v48
	v_lshrrev_b32_e32 v38, 16, v47
	v_lshrrev_b32_e32 v61, 16, v49
	v_mul_f16_sdwa v108, v77, v32 dst_sel:DWORD dst_unused:UNUSED_PAD src0_sel:DWORD src1_sel:WORD_1
	v_mul_f16_sdwa v109, v50, v32 dst_sel:DWORD dst_unused:UNUSED_PAD src0_sel:DWORD src1_sel:WORD_1
	;; [unrolled: 1-line block ×23, first 2 shown]
	v_fma_f16 v108, v50, v32, -v108
	v_mul_f16_sdwa v169, v100, v20 dst_sel:DWORD dst_unused:UNUSED_PAD src0_sel:DWORD src1_sel:WORD_1
	v_mul_f16_sdwa v170, v72, v20 dst_sel:DWORD dst_unused:UNUSED_PAD src0_sel:DWORD src1_sel:WORD_1
	;; [unrolled: 1-line block ×7, first 2 shown]
	v_fmac_f16_e32 v109, v77, v32
	v_fma_f16 v77, v45, v33, -v110
	v_mul_f16_sdwa v177, v104, v16 dst_sel:DWORD dst_unused:UNUSED_PAD src0_sel:DWORD src1_sel:WORD_1
	v_mul_f16_sdwa v41, v73, v16 dst_sel:DWORD dst_unused:UNUSED_PAD src0_sel:DWORD src1_sel:WORD_1
	;; [unrolled: 1-line block ×6, first 2 shown]
	v_fmac_f16_e32 v140, v85, v33
	v_fma_f16 v59, v59, v34, -v141
	v_fmac_f16_e32 v150, v86, v34
	v_fma_f16 v62, v62, v35, -v151
	;; [unrolled: 2-line block ×4, first 2 shown]
	v_fmac_f16_e32 v156, v93, v29
	v_fmac_f16_e32 v158, v94, v30
	v_fma_f16 v86, v63, v31, -v159
	v_fmac_f16_e32 v160, v95, v31
	v_fma_f16 v63, v65, v24, -v161
	v_fmac_f16_e32 v162, v96, v24
	v_fma_f16 v65, v68, v25, -v163
	v_fmac_f16_e32 v164, v97, v25
	v_fma_f16 v68, v67, v26, -v165
	v_fmac_f16_e32 v166, v98, v26
	v_fma_f16 v70, v70, v27, -v167
	v_fmac_f16_e32 v168, v99, v27
	v_fma_f16 v67, v72, v20, -v169
	v_mul_f16_sdwa v157, v94, v30 dst_sel:DWORD dst_unused:UNUSED_PAD src0_sel:DWORD src1_sel:WORD_1
	v_mul_f16_sdwa v175, v103, v23 dst_sel:DWORD dst_unused:UNUSED_PAD src0_sel:DWORD src1_sel:WORD_1
	;; [unrolled: 1-line block ×3, first 2 shown]
	v_fmac_f16_e32 v170, v100, v20
	v_fma_f16 v69, v69, v21, -v171
	v_fmac_f16_e32 v172, v101, v21
	v_fma_f16 v72, v74, v22, -v173
	v_fmac_f16_e32 v174, v102, v22
	v_fmac_f16_e32 v176, v103, v23
	v_fma_f16 v50, v73, v16, -v177
	v_fmac_f16_e32 v41, v104, v16
	v_fma_f16 v45, v58, v17, -v178
	;; [unrolled: 2-line block ×3, first 2 shown]
	v_fma_f16 v58, v76, v19, -v180
	v_add_f16_e32 v73, v4, v108
	v_add_f16_e32 v74, v77, v59
	v_sub_f16_e32 v75, v109, v152
	v_sub_f16_e32 v91, v108, v77
	v_sub_f16_e32 v92, v62, v59
	v_sub_f16_e32 v94, v77, v108
	v_sub_f16_e32 v95, v59, v62
	v_add_f16_e32 v96, v40, v109
	v_add_f16_e32 v97, v140, v150
	v_sub_f16_e32 v100, v109, v140
	v_add_f16_e32 v102, v109, v152
	v_sub_f16_e32 v103, v140, v109
	v_sub_f16_e32 v104, v150, v152
	v_add_f16_e32 v105, v5, v64
	v_sub_f16_e32 v109, v64, v85
	v_add_f16_e32 v141, v64, v86
	v_sub_f16_e32 v151, v85, v64
	v_sub_f16_e32 v159, v64, v86
	v_sub_f16_e32 v64, v154, v156
	v_sub_f16_e32 v163, v160, v158
	v_add_f16_e32 v169, v47, v63
	v_sub_f16_e32 v177, v63, v65
	v_add_f16_e32 v179, v63, v70
	v_sub_f16_e32 v180, v65, v63
	v_sub_f16_e32 v184, v63, v70
	;; [unrolled: 1-line block ×4, first 2 shown]
	v_add_f16_e32 v189, v48, v67
	v_mul_f16_sdwa v44, v76, v19 dst_sel:DWORD dst_unused:UNUSED_PAD src0_sel:DWORD src1_sel:WORD_1
	v_fma_f16 v66, v66, v30, -v157
	v_fma_f16 v71, v71, v23, -v175
	v_sub_f16_e32 v76, v140, v150
	v_add_f16_e32 v93, v108, v62
	v_sub_f16_e32 v99, v77, v59
	v_add_f16_e32 v157, v156, v158
	v_add_f16_e32 v199, v172, v174
	v_add_f16_e32 v73, v73, v77
	v_fma_f16 v74, -0.5, v74, v4
	v_add_f16_e32 v77, v91, v92
	v_add_f16_e32 v91, v94, v95
	;; [unrolled: 1-line block ×3, first 2 shown]
	v_fma_f16 v95, -0.5, v97, v40
	v_fmac_f16_e32 v40, -0.5, v102
	v_add_f16_e32 v94, v103, v104
	v_add_f16_e32 v103, v64, v163
	;; [unrolled: 1-line block ×5, first 2 shown]
	v_fmac_f16_e32 v43, v106, v18
	v_sub_f16_e32 v98, v108, v62
	v_sub_f16_e32 v101, v152, v150
	v_add_f16_e32 v106, v85, v66
	v_add_f16_e32 v155, v39, v154
	v_sub_f16_e32 v161, v85, v66
	v_add_f16_e32 v190, v69, v72
	v_sub_f16_e32 v193, v67, v69
	v_sub_f16_e32 v194, v71, v72
	;; [unrolled: 1-line block ×6, first 2 shown]
	v_fma_f16 v4, -0.5, v93, v4
	v_add_f16_e32 v85, v105, v85
	v_fma_f16 v102, -0.5, v157, v39
	v_fma_f16 v69, -0.5, v199, v60
	v_add_f16_e32 v59, v73, v59
	v_fmamk_f16 v73, v75, 0x3b9c, v74
	v_fmac_f16_e32 v74, 0xbb9c, v75
	v_add_f16_e32 v92, v92, v150
	v_fmamk_f16 v157, v99, 0x3b9c, v40
	v_fmac_f16_e32 v40, 0xbb9c, v99
	v_add_f16_e32 v150, v64, v68
	v_add_f16_e32 v72, v63, v72
	v_fmac_f16_e32 v44, v107, v19
	v_sub_f16_e32 v107, v154, v160
	v_sub_f16_e32 v108, v156, v158
	;; [unrolled: 1-line block ×4, first 2 shown]
	v_add_f16_e32 v165, v154, v160
	v_sub_f16_e32 v154, v156, v154
	v_sub_f16_e32 v178, v70, v68
	;; [unrolled: 1-line block ×3, first 2 shown]
	v_add_f16_e32 v195, v67, v71
	v_sub_f16_e32 v202, v170, v172
	v_sub_f16_e32 v203, v176, v174
	v_add_f16_e32 v204, v170, v176
	v_add_f16_e32 v93, v100, v101
	;; [unrolled: 1-line block ×3, first 2 shown]
	v_fmamk_f16 v155, v76, 0xbb9c, v4
	v_fmac_f16_e32 v4, 0x3b9c, v76
	v_fmamk_f16 v156, v98, 0xbb9c, v95
	v_fmac_f16_e32 v95, 0x3b9c, v98
	v_add_f16_e32 v66, v85, v66
	v_fmamk_f16 v64, v200, 0xbb9c, v69
	v_fmac_f16_e32 v73, 0x38b4, v76
	v_fmac_f16_e32 v74, 0xb8b4, v76
	;; [unrolled: 1-line block ×4, first 2 shown]
	v_add_f16_e32 v98, v150, v70
	v_add_f16_e32 v72, v72, v71
	v_fmac_f16_e32 v69, 0x3b9c, v200
	v_sub_f16_e32 v70, v172, v170
	v_sub_f16_e32 v71, v174, v176
	;; [unrolled: 1-line block ×3, first 2 shown]
	v_add_f16_e32 v182, v38, v162
	v_add_f16_e32 v187, v162, v168
	v_sub_f16_e32 v162, v164, v162
	v_sub_f16_e32 v188, v166, v168
	v_add_f16_e32 v198, v60, v170
	v_fma_f16 v97, -0.5, v106, v5
	v_fmac_f16_e32 v5, -0.5, v141
	v_fmac_f16_e32 v60, -0.5, v204
	v_add_f16_e32 v85, v101, v158
	v_add_f16_e32 v59, v59, v62
	v_fmac_f16_e32 v155, 0x38b4, v75
	v_fmac_f16_e32 v4, 0xb8b4, v75
	;; [unrolled: 1-line block ×4, first 2 shown]
	v_add_f16_e32 v66, v66, v86
	v_fmac_f16_e32 v73, 0x34f2, v77
	v_fmac_f16_e32 v74, 0x34f2, v77
	;; [unrolled: 1-line block ×5, first 2 shown]
	v_add_f16_e32 v62, v202, v203
	v_add_f16_e32 v77, v45, v46
	v_fmac_f16_e32 v69, 0x38b4, v201
	v_add_f16_e32 v86, v70, v71
	v_add_f16_e32 v71, v49, v50
	v_add_f16_e32 v94, v50, v58
	v_add_f16_e32 v141, v162, v188
	v_fmamk_f16 v162, v107, 0x3b9c, v97
	v_fmac_f16_e32 v97, 0xbb9c, v107
	v_fmamk_f16 v163, v108, 0xbb9c, v5
	v_fmac_f16_e32 v5, 0x3b9c, v108
	v_add_f16_e32 v75, v92, v152
	v_add_f16_e32 v76, v85, v160
	v_fmac_f16_e32 v155, 0x34f2, v91
	v_fmac_f16_e32 v4, 0x34f2, v91
	;; [unrolled: 1-line block ×4, first 2 shown]
	v_fmamk_f16 v85, v201, 0x3b9c, v60
	v_fmac_f16_e32 v64, 0x34f2, v62
	v_fma_f16 v70, -0.5, v77, v49
	v_fmac_f16_e32 v69, 0x34f2, v62
	v_fmac_f16_e32 v60, 0xbb9c, v201
	v_add_f16_e32 v62, v71, v45
	v_sub_f16_e32 v92, v42, v43
	v_sub_f16_e32 v91, v50, v45
	;; [unrolled: 1-line block ×3, first 2 shown]
	v_fmac_f16_e32 v49, -0.5, v94
	v_add_f16_e32 v96, v109, v110
	v_add_f16_e32 v100, v151, v153
	v_fmac_f16_e32 v162, 0x38b4, v108
	v_fmac_f16_e32 v97, 0xb8b4, v108
	;; [unrolled: 1-line block ×5, first 2 shown]
	v_sub_f16_e32 v77, v41, v44
	v_fmac_f16_e32 v60, 0x38b4, v200
	v_add_f16_e32 v62, v62, v46
	v_add_f16_e32 v93, v91, v93
	v_fmamk_f16 v91, v92, 0xbb9c, v49
	v_fmac_f16_e32 v49, 0x3b9c, v92
	v_fmac_f16_e32 v162, 0x34f2, v96
	;; [unrolled: 1-line block ×6, first 2 shown]
	v_fmamk_f16 v71, v77, 0x3b9c, v70
	v_fmac_f16_e32 v60, 0x34f2, v86
	v_add_f16_e32 v86, v62, v58
	v_fmac_f16_e32 v70, 0xbb9c, v77
	v_sub_f16_e32 v62, v45, v50
	v_sub_f16_e32 v94, v46, v58
	v_add_f16_e32 v96, v61, v41
	v_add_f16_e32 v100, v42, v43
	v_fmac_f16_e32 v91, 0x38b4, v77
	v_fmac_f16_e32 v49, 0xb8b4, v77
	v_add_f16_e32 v77, v41, v44
	v_fmac_f16_e32 v71, 0x38b4, v92
	v_fmac_f16_e32 v70, 0xb8b4, v92
	v_add_f16_e32 v62, v62, v94
	v_add_f16_e32 v94, v96, v42
	v_fma_f16 v92, -0.5, v100, v61
	v_sub_f16_e32 v45, v45, v46
	v_sub_f16_e32 v46, v41, v42
	;; [unrolled: 1-line block ×3, first 2 shown]
	v_fmac_f16_e32 v61, -0.5, v77
	v_add_f16_e32 v171, v65, v68
	v_add_f16_e32 v183, v164, v166
	v_fmac_f16_e32 v39, -0.5, v165
	v_sub_f16_e32 v191, v170, v176
	v_fma_f16 v67, -0.5, v190, v48
	v_fmamk_f16 v101, v159, 0xbb9c, v102
	v_sub_f16_e32 v50, v50, v58
	v_add_f16_e32 v46, v46, v96
	v_fmamk_f16 v96, v45, 0x3b9c, v61
	v_sub_f16_e32 v41, v42, v41
	v_sub_f16_e32 v42, v43, v44
	v_fmac_f16_e32 v61, 0xbb9c, v45
	v_sub_f16_e32 v167, v158, v160
	v_sub_f16_e32 v185, v65, v68
	v_fma_f16 v65, -0.5, v171, v47
	v_add_f16_e32 v109, v182, v164
	v_fma_f16 v110, -0.5, v183, v38
	v_fmamk_f16 v158, v161, 0x3b9c, v39
	v_fmac_f16_e32 v39, 0xbb9c, v161
	v_sub_f16_e32 v175, v164, v166
	v_fma_f16 v47, -0.5, v179, v47
	v_fmac_f16_e32 v38, -0.5, v187
	v_fmac_f16_e32 v102, 0x3b9c, v159
	v_fmac_f16_e32 v91, 0x34f2, v62
	;; [unrolled: 1-line block ×3, first 2 shown]
	v_mov_b32_e32 v62, 2
	v_sub_f16_e32 v192, v172, v174
	v_fmamk_f16 v63, v191, 0x3b9c, v67
	v_fmac_f16_e32 v67, 0xbb9c, v191
	v_fmac_f16_e32 v101, 0xb8b4, v161
	;; [unrolled: 1-line block ×3, first 2 shown]
	v_add_f16_e32 v41, v41, v42
	v_fmac_f16_e32 v61, 0x38b4, v50
	v_add_f16_e32 v104, v154, v167
	v_fmac_f16_e32 v48, -0.5, v195
	v_fmamk_f16 v164, v173, 0x3b9c, v65
	v_add_f16_e32 v109, v109, v166
	v_fmamk_f16 v166, v184, 0xbb9c, v110
	v_fmac_f16_e32 v158, 0xb8b4, v159
	v_fmac_f16_e32 v39, 0x38b4, v159
	v_fmamk_f16 v165, v175, 0xbb9c, v47
	v_fmac_f16_e32 v47, 0x3b9c, v175
	v_fmamk_f16 v167, v185, 0x3b9c, v38
	v_fmac_f16_e32 v38, 0xbb9c, v185
	v_fmac_f16_e32 v102, 0x38b4, v161
	;; [unrolled: 1-line block ×4, first 2 shown]
	v_add_f16_e32 v154, v198, v172
	v_lshlrev_b32_sdwa v150, v62, v6 dst_sel:DWORD dst_unused:UNUSED_PAD src0_sel:DWORD src1_sel:WORD_0
	v_pack_b32_f16 v6, v59, v75
	v_pack_b32_f16 v15, v73, v156
	v_add_f16_e32 v151, v193, v194
	v_fmac_f16_e32 v63, 0x38b4, v192
	v_fmac_f16_e32 v67, 0xb8b4, v192
	;; [unrolled: 1-line block ×5, first 2 shown]
	v_pack_b32_f16 v41, v155, v157
	v_pack_b32_f16 v4, v4, v40
	v_add_f16_e32 v105, v177, v178
	v_fmamk_f16 v68, v192, 0xbb9c, v48
	v_fmac_f16_e32 v48, 0x3b9c, v192
	v_fmac_f16_e32 v164, 0x38b4, v175
	;; [unrolled: 1-line block ×5, first 2 shown]
	v_add_f16_e32 v106, v180, v181
	v_fmac_f16_e32 v165, 0x38b4, v173
	v_fmac_f16_e32 v47, 0xb8b4, v173
	;; [unrolled: 1-line block ×7, first 2 shown]
	v_add_f16_e32 v154, v154, v174
	ds_write2_b32 v150, v6, v15 offset1:28
	ds_write2_b32 v150, v41, v4 offset0:56 offset1:84
	v_pack_b32_f16 v4, v74, v95
	v_fmac_f16_e32 v63, 0x34f2, v151
	v_fmac_f16_e32 v67, 0x34f2, v151
	v_lshlrev_b32_sdwa v151, v62, v7 dst_sel:DWORD dst_unused:UNUSED_PAD src0_sel:DWORD src1_sel:WORD_0
	v_pack_b32_f16 v6, v66, v76
	v_pack_b32_f16 v7, v162, v101
	v_add_f16_e32 v153, v196, v197
	v_add_f16_e32 v99, v109, v168
	v_fmac_f16_e32 v68, 0x38b4, v191
	v_fmac_f16_e32 v48, 0xb8b4, v191
	;; [unrolled: 1-line block ×6, first 2 shown]
	v_fmamk_f16 v93, v50, 0xbb9c, v92
	v_pack_b32_f16 v14, v163, v158
	v_pack_b32_f16 v5, v5, v39
	v_fmac_f16_e32 v165, 0x34f2, v106
	v_fmac_f16_e32 v47, 0x34f2, v106
	;; [unrolled: 1-line block ×4, first 2 shown]
	v_pack_b32_f16 v15, v97, v102
	v_fmac_f16_e32 v65, 0x34f2, v105
	v_fmac_f16_e32 v110, 0x34f2, v140
	;; [unrolled: 1-line block ×3, first 2 shown]
	v_add_f16_e32 v107, v154, v176
	ds_write_b32 v150, v4 offset:448
	ds_write2_b32 v151, v6, v7 offset1:28
	ds_write2_b32 v151, v14, v5 offset0:56 offset1:84
	ds_write_b32 v151, v15 offset:448
	v_mad_u16 v5, 0x8c, v9, v12
	v_fmac_f16_e32 v68, 0x34f2, v153
	v_fmac_f16_e32 v48, 0x34f2, v153
	v_add_f16_e32 v58, v94, v43
	v_fmac_f16_e32 v93, 0xb8b4, v45
	v_lshlrev_b32_sdwa v153, v62, v11 dst_sel:DWORD dst_unused:UNUSED_PAD src0_sel:DWORD src1_sel:WORD_0
	v_pack_b32_f16 v4, v98, v99
	v_pack_b32_f16 v6, v164, v166
	;; [unrolled: 1-line block ×4, first 2 shown]
	v_fmac_f16_e32 v92, 0x38b4, v45
	v_pack_b32_f16 v11, v65, v110
	v_lshlrev_b32_sdwa v152, v62, v5 dst_sel:DWORD dst_unused:UNUSED_PAD src0_sel:DWORD src1_sel:WORD_0
	v_pack_b32_f16 v5, v72, v107
	v_pack_b32_f16 v12, v63, v64
	v_add_f16_e32 v94, v58, v44
	v_fmac_f16_e32 v93, 0x34f2, v46
	ds_write2_b32 v153, v4, v6 offset1:28
	ds_write2_b32 v153, v7, v9 offset0:56 offset1:84
	ds_write_b32 v153, v11 offset:448
	v_mad_u16 v4, 0x8c, v8, v10
	v_fmac_f16_e32 v92, 0x34f2, v46
	ds_write2_b32 v152, v5, v12 offset1:28
	v_pack_b32_f16 v5, v68, v85
	v_pack_b32_f16 v6, v48, v60
	;; [unrolled: 1-line block ×3, first 2 shown]
	v_lshlrev_b32_sdwa v154, v62, v4 dst_sel:DWORD dst_unused:UNUSED_PAD src0_sel:DWORD src1_sel:WORD_0
	v_pack_b32_f16 v4, v86, v94
	v_pack_b32_f16 v8, v71, v93
	v_pack_b32_f16 v9, v91, v96
	v_pack_b32_f16 v10, v49, v61
	v_pack_b32_f16 v11, v70, v92
	ds_write2_b32 v152, v5, v6 offset0:56 offset1:84
	ds_write_b32 v152, v7 offset:448
	ds_write2_b32 v154, v4, v8 offset1:28
	ds_write2_b32 v154, v9, v10 offset0:56 offset1:84
	ds_write_b32 v154, v11 offset:448
	s_waitcnt lgkmcnt(0)
	s_barrier
	buffer_gl0_inv
	ds_read_b32 v159, v113 offset:2800
	ds_read_b32 v158, v113 offset:5600
	;; [unrolled: 1-line block ×14, first 2 shown]
	ds_read_b32 v95, v113
	ds_read_b32 v102, v113 offset:42000
	v_lshlrev_b32_e32 v50, 2, v51
	v_lshlrev_b32_e32 v59, 2, v36
	;; [unrolled: 1-line block ×3, first 2 shown]
                                        ; implicit-def: $vgpr97
                                        ; implicit-def: $vgpr160
                                        ; implicit-def: $vgpr98
                                        ; implicit-def: $vgpr161
                                        ; implicit-def: $vgpr99
                                        ; implicit-def: $vgpr162
                                        ; implicit-def: $vgpr100
                                        ; implicit-def: $vgpr163
	s_and_saveexec_b32 s2, s1
	s_cbranch_execz .LBB0_13
; %bb.12:
	ds_read_b32 v63, v113 offset:1792
	ds_read_b32 v68, v113 offset:4592
	;; [unrolled: 1-line block ×16, first 2 shown]
	s_waitcnt lgkmcnt(15)
	v_lshrrev_b32_e32 v64, 16, v63
	s_waitcnt lgkmcnt(14)
	v_lshrrev_b32_e32 v85, 16, v68
	s_waitcnt lgkmcnt(13)
	v_lshrrev_b32_e32 v60, 16, v48
	s_waitcnt lgkmcnt(12)
	v_lshrrev_b32_e32 v69, 16, v67
	s_waitcnt lgkmcnt(11)
	v_lshrrev_b32_e32 v94, 16, v86
	s_waitcnt lgkmcnt(10)
	v_lshrrev_b32_e32 v93, 16, v71
	s_waitcnt lgkmcnt(9)
	v_lshrrev_b32_e32 v96, 16, v91
	s_waitcnt lgkmcnt(8)
	v_lshrrev_b32_e32 v61, 16, v49
	s_waitcnt lgkmcnt(7)
	v_lshrrev_b32_e32 v92, 16, v70
	s_waitcnt lgkmcnt(6)
	v_lshrrev_b32_e32 v55, 16, v52
	s_waitcnt lgkmcnt(5)
	v_lshrrev_b32_e32 v56, 16, v53
	s_waitcnt lgkmcnt(4)
	v_lshrrev_b32_e32 v57, 16, v54
	s_waitcnt lgkmcnt(3)
	v_lshrrev_b32_e32 v163, 16, v100
	s_waitcnt lgkmcnt(2)
	v_lshrrev_b32_e32 v162, 16, v99
	s_waitcnt lgkmcnt(1)
	v_lshrrev_b32_e32 v161, 16, v98
	s_waitcnt lgkmcnt(0)
	v_lshrrev_b32_e32 v160, 16, v97
.LBB0_13:
	s_or_b32 exec_lo, exec_lo, s2
	v_mul_u32_u24_e32 v4, 0xea0f, v135
	v_mov_b32_e32 v6, 0xea0f
	s_waitcnt lgkmcnt(15)
	v_lshrrev_b32_e32 v164, 16, v159
	s_waitcnt lgkmcnt(14)
	v_lshrrev_b32_e32 v165, 16, v158
	;; [unrolled: 2-line block ×3, first 2 shown]
	v_lshrrev_b32_e32 v65, 23, v4
	v_mul_u32_u24_sdwa v6, v51, v6 dst_sel:DWORD dst_unused:UNUSED_PAD src0_sel:WORD_0 src1_sel:DWORD
	s_waitcnt lgkmcnt(12)
	v_lshrrev_b32_e32 v167, 16, v156
	s_waitcnt lgkmcnt(11)
	v_lshrrev_b32_e32 v168, 16, v155
	;; [unrolled: 2-line block ×3, first 2 shown]
	v_mul_lo_u16 v4, 0x8c, v65
	v_lshrrev_b32_e32 v140, 23, v6
	s_waitcnt lgkmcnt(9)
	v_lshrrev_b32_e32 v170, 16, v109
	s_waitcnt lgkmcnt(8)
	;; [unrolled: 2-line block ×3, first 2 shown]
	v_lshrrev_b32_e32 v172, 16, v107
	v_sub_nc_u16 v66, v135, v4
	s_waitcnt lgkmcnt(6)
	v_lshrrev_b32_e32 v173, 16, v106
	s_waitcnt lgkmcnt(5)
	v_lshrrev_b32_e32 v174, 16, v105
	;; [unrolled: 2-line block ×4, first 2 shown]
	v_mul_lo_u16 v4, v66, 60
	s_waitcnt lgkmcnt(2)
	v_lshrrev_b32_e32 v177, 16, v101
	s_waitcnt lgkmcnt(0)
	v_lshrrev_b32_e32 v178, 16, v102
	v_mad_u16 v65, 0x8c0, v65, v66
	v_and_b32_e32 v4, 0xffff, v4
	v_add_co_u32 v4, s2, s4, v4
	v_add_co_ci_u32_e64 v5, null, s5, 0, s2
	s_clause 0x3
	global_load_dwordx4 v[44:47], v[4:5], off offset:544
	global_load_dwordx4 v[40:43], v[4:5], off offset:560
	;; [unrolled: 1-line block ×3, first 2 shown]
	global_load_dwordx3 v[75:77], v[4:5], off offset:592
	v_mul_lo_u16 v4, 0x8c, v140
	v_sub_nc_u16 v141, v51, v4
	v_lshrrev_b32_e32 v51, 16, v95
	v_mul_lo_u16 v4, v141, 60
	v_and_b32_e32 v4, 0xffff, v4
	v_add_co_u32 v72, s2, s4, v4
	v_add_co_ci_u32_e64 v73, null, s5, 0, s2
	s_clause 0x3
	global_load_dwordx4 v[4:7], v[72:73], off offset:544
	global_load_dwordx4 v[8:11], v[72:73], off offset:560
	;; [unrolled: 1-line block ×3, first 2 shown]
	global_load_dwordx3 v[72:74], v[72:73], off offset:592
	s_waitcnt vmcnt(0)
	s_barrier
	buffer_gl0_inv
	v_mul_f16_sdwa v179, v164, v44 dst_sel:DWORD dst_unused:UNUSED_PAD src0_sel:DWORD src1_sel:WORD_1
	v_mul_f16_sdwa v180, v159, v44 dst_sel:DWORD dst_unused:UNUSED_PAD src0_sel:DWORD src1_sel:WORD_1
	;; [unrolled: 1-line block ×30, first 2 shown]
	v_fma_f16 v159, v159, v44, -v179
	v_fmac_f16_e32 v180, v164, v44
	v_fma_f16 v158, v158, v45, -v181
	v_fmac_f16_e32 v182, v165, v45
	;; [unrolled: 2-line block ×15, first 2 shown]
	v_mul_f16_sdwa v165, v68, v4 dst_sel:DWORD dst_unused:UNUSED_PAD src0_sel:DWORD src1_sel:WORD_1
	v_mul_f16_sdwa v167, v48, v5 dst_sel:DWORD dst_unused:UNUSED_PAD src0_sel:DWORD src1_sel:WORD_1
	;; [unrolled: 1-line block ×30, first 2 shown]
	v_fmac_f16_e32 v165, v85, v4
	v_fmac_f16_e32 v167, v60, v5
	v_fma_f16 v60, v67, v6, -v168
	v_fmac_f16_e32 v169, v69, v6
	v_fma_f16 v67, v86, v7, -v170
	;; [unrolled: 2-line block ×4, first 2 shown]
	v_fmac_f16_e32 v175, v96, v9
	v_fmac_f16_e32 v177, v61, v10
	v_fma_f16 v61, v70, v11, -v178
	v_fmac_f16_e32 v179, v92, v11
	v_fmac_f16_e32 v183, v55, v12
	;; [unrolled: 1-line block ×4, first 2 shown]
	v_fma_f16 v55, v100, v15, -v193
	v_fma_f16 v56, v99, v72, -v197
	;; [unrolled: 1-line block ×4, first 2 shown]
	v_sub_f16_e32 v85, v95, v108
	v_sub_f16_e32 v86, v51, v194
	;; [unrolled: 1-line block ×16, first 2 shown]
	v_fma_f16 v68, v68, v4, -v164
	v_fma_f16 v48, v48, v5, -v166
	;; [unrolled: 1-line block ×6, first 2 shown]
	v_fmac_f16_e32 v195, v163, v15
	v_fmac_f16_e32 v199, v162, v72
	;; [unrolled: 1-line block ×4, first 2 shown]
	v_fma_f16 v95, v95, 2.0, -v85
	v_fma_f16 v51, v51, 2.0, -v86
	;; [unrolled: 1-line block ×13, first 2 shown]
	v_sub_f16_e32 v92, v85, v92
	v_add_f16_e32 v91, v86, v91
	v_sub_f16_e32 v97, v93, v97
	v_add_f16_e32 v96, v94, v96
	;; [unrolled: 2-line block ×4, first 2 shown]
	v_fma_f16 v156, v182, 2.0, -v94
	v_fma_f16 v160, v180, 2.0, -v99
	;; [unrolled: 1-line block ×3, first 2 shown]
	v_sub_f16_e32 v61, v63, v61
	v_sub_f16_e32 v164, v64, v179
	;; [unrolled: 1-line block ×18, first 2 shown]
	v_fma_f16 v85, v85, 2.0, -v92
	v_fma_f16 v86, v86, 2.0, -v91
	v_sub_f16_e32 v110, v108, v110
	v_fma_f16 v93, v93, 2.0, -v97
	v_fma_f16 v94, v94, 2.0, -v96
	v_sub_f16_e32 v155, v159, v155
	v_fma_f16 v98, v98, 2.0, -v101
	v_fma_f16 v99, v99, 2.0, -v100
	v_sub_f16_e32 v109, v157, v109
	v_fma_f16 v103, v103, 2.0, -v105
	v_fma_f16 v104, v104, 2.0, -v102
	v_fmamk_f16 v179, v97, 0x39a8, v92
	v_fmamk_f16 v180, v96, 0x39a8, v91
	v_sub_f16_e32 v158, v156, v158
	v_sub_f16_e32 v161, v160, v161
	;; [unrolled: 1-line block ×3, first 2 shown]
	v_fmamk_f16 v181, v105, 0x39a8, v101
	v_fmamk_f16 v182, v102, 0x39a8, v100
	v_fma_f16 v64, v64, 2.0, -v164
	v_fma_f16 v171, v171, 2.0, -v166
	;; [unrolled: 1-line block ×14, first 2 shown]
	v_sub_f16_e32 v166, v61, v166
	v_add_f16_e32 v177, v164, v55
	v_sub_f16_e32 v170, v53, v170
	v_add_f16_e32 v184, v168, v57
	;; [unrolled: 2-line block ×4, first 2 shown]
	v_fma_f16 v70, v95, 2.0, -v106
	v_fma_f16 v95, v51, 2.0, -v107
	;; [unrolled: 1-line block ×5, first 2 shown]
	v_fmamk_f16 v157, v93, 0xb9a8, v85
	v_fmamk_f16 v159, v94, 0xb9a8, v86
	v_fmac_f16_e32 v179, 0xb9a8, v96
	v_fmac_f16_e32 v180, 0x39a8, v97
	v_fmamk_f16 v96, v103, 0xb9a8, v98
	v_fmamk_f16 v97, v104, 0xb9a8, v99
	v_fma_f16 v63, v63, 2.0, -v61
	v_fma_f16 v67, v67, 2.0, -v55
	;; [unrolled: 1-line block ×5, first 2 shown]
	v_sub_f16_e32 v158, v106, v158
	v_add_f16_e32 v110, v107, v110
	v_sub_f16_e32 v160, v155, v163
	v_add_f16_e32 v109, v161, v109
	v_fmac_f16_e32 v181, 0xb9a8, v102
	v_fmac_f16_e32 v182, 0x39a8, v105
	v_sub_f16_e32 v102, v64, v171
	v_fma_f16 v105, v61, 2.0, -v166
	v_fma_f16 v162, v164, 2.0, -v177
	v_sub_f16_e32 v61, v183, v48
	v_sub_f16_e32 v71, v167, v71
	v_fma_f16 v164, v168, 2.0, -v184
	v_sub_f16_e32 v168, v68, v69
	v_sub_f16_e32 v171, v165, v173
	v_fma_f16 v173, v52, 2.0, -v174
	v_fma_f16 v172, v172, 2.0, -v185
	v_sub_f16_e32 v187, v60, v49
	v_sub_f16_e32 v69, v169, v175
	v_fma_f16 v175, v54, 2.0, -v178
	v_fma_f16 v176, v176, 2.0, -v186
	v_fmamk_f16 v49, v170, 0x39a8, v166
	v_fmamk_f16 v48, v184, 0x39a8, v177
	v_fmac_f16_e32 v157, 0xb9a8, v94
	v_fmac_f16_e32 v159, 0x39a8, v93
	;; [unrolled: 1-line block ×4, first 2 shown]
	v_sub_f16_e32 v67, v63, v67
	v_fma_f16 v163, v53, 2.0, -v170
	v_fmamk_f16 v188, v178, 0x39a8, v174
	v_fmamk_f16 v189, v186, 0x39a8, v185
	v_sub_f16_e32 v190, v70, v51
	v_sub_f16_e32 v191, v95, v55
	v_fma_f16 v93, v106, 2.0, -v158
	v_fma_f16 v94, v107, 2.0, -v110
	v_sub_f16_e32 v106, v108, v56
	v_sub_f16_e32 v107, v156, v57
	v_fma_f16 v104, v161, 2.0, -v109
	v_fmamk_f16 v192, v160, 0x39a8, v158
	v_fma_f16 v52, v64, 2.0, -v102
	v_fma_f16 v64, v167, 2.0, -v71
	;; [unrolled: 1-line block ×3, first 2 shown]
	v_fmamk_f16 v57, v164, 0xb9a8, v162
	v_fmac_f16_e32 v49, 0xb9a8, v184
	v_fmac_f16_e32 v48, 0x39a8, v170
	v_fmamk_f16 v169, v175, 0xb9a8, v173
	v_fmamk_f16 v170, v176, 0xb9a8, v172
	v_fma_f16 v167, v85, 2.0, -v157
	v_fma_f16 v184, v86, 2.0, -v159
	;; [unrolled: 1-line block ×4, first 2 shown]
	v_fmamk_f16 v200, v97, 0x361f, v159
	v_fma_f16 v92, v92, 2.0, -v179
	v_fma_f16 v91, v91, 2.0, -v180
	;; [unrolled: 1-line block ×9, first 2 shown]
	v_fmamk_f16 v56, v163, 0xb9a8, v105
	v_sub_f16_e32 v60, v67, v71
	v_add_f16_e32 v51, v102, v61
	v_sub_f16_e32 v183, v168, v69
	v_fma_f16 v165, v70, 2.0, -v190
	v_fma_f16 v95, v95, 2.0, -v191
	;; [unrolled: 1-line block ×4, first 2 shown]
	v_fmamk_f16 v199, v96, 0x361f, v157
	v_fmac_f16_e32 v192, 0xb9a8, v109
	v_fmac_f16_e32 v57, 0x39a8, v163
	;; [unrolled: 1-line block ×4, first 2 shown]
	v_fmamk_f16 v175, v98, 0xbb64, v167
	v_fmamk_f16 v176, v99, 0xbb64, v184
	v_fmac_f16_e32 v200, 0x3b64, v96
	v_fmac_f16_e32 v188, 0xb9a8, v186
	v_fmac_f16_e32 v189, 0x39a8, v178
	v_fmamk_f16 v108, v103, 0xb9a8, v93
	v_fmamk_f16 v196, v104, 0xb9a8, v94
	;; [unrolled: 1-line block ×7, first 2 shown]
	v_fma_f16 v55, v68, 2.0, -v168
	v_sub_f16_e32 v69, v54, v63
	v_fmac_f16_e32 v56, 0xb9a8, v164
	v_fma_f16 v67, v67, 2.0, -v60
	v_fma_f16 v61, v102, 2.0, -v51
	;; [unrolled: 1-line block ×4, first 2 shown]
	v_sub_f16_e32 v102, v165, v85
	v_sub_f16_e32 v109, v95, v86
	v_fmac_f16_e32 v199, 0xbb64, v97
	v_fma_f16 v97, v158, 2.0, -v192
	v_fma_f16 v85, v162, 2.0, -v57
	v_fmac_f16_e32 v175, 0xb61f, v99
	v_fmac_f16_e32 v176, 0x361f, v98
	v_fma_f16 v99, v159, 2.0, -v200
	v_add_f16_e32 v162, v171, v187
	v_fma_f16 v156, v168, 2.0, -v183
	v_fma_f16 v158, v174, 2.0, -v188
	;; [unrolled: 1-line block ×3, first 2 shown]
	v_sub_f16_e32 v70, v53, v161
	v_fmac_f16_e32 v108, 0xb9a8, v104
	v_fmac_f16_e32 v196, 0x39a8, v103
	;; [unrolled: 1-line block ×4, first 2 shown]
	v_fmamk_f16 v161, v183, 0x39a8, v60
	v_sub_f16_e32 v107, v190, v107
	v_add_f16_e32 v106, v191, v106
	v_fmac_f16_e32 v193, 0x39a8, v160
	v_fmac_f16_e32 v194, 0xb61f, v182
	;; [unrolled: 1-line block ×3, first 2 shown]
	v_sub_f16_e32 v71, v55, v155
	v_fma_f16 v86, v105, 2.0, -v56
	v_fma_f16 v105, v173, 2.0, -v169
	;; [unrolled: 1-line block ×9, first 2 shown]
	v_fmamk_f16 v165, v156, 0xb9a8, v67
	v_fmamk_f16 v166, v158, 0xb61f, v68
	;; [unrolled: 1-line block ×3, first 2 shown]
	v_fma_f16 v93, v93, 2.0, -v108
	v_fma_f16 v94, v94, 2.0, -v196
	;; [unrolled: 1-line block ×4, first 2 shown]
	v_fmamk_f16 v163, v162, 0x39a8, v51
	v_fmac_f16_e32 v161, 0xb9a8, v162
	v_lshlrev_b32_sdwa v162, v62, v65 dst_sel:DWORD dst_unused:UNUSED_PAD src0_sel:DWORD src1_sel:WORD_0
	v_fma_f16 v100, v190, 2.0, -v107
	v_fma_f16 v101, v191, 2.0, -v106
	v_sub_f16_e32 v64, v52, v64
	v_fma_f16 v103, v110, 2.0, -v193
	v_fma_f16 v104, v179, 2.0, -v194
	;; [unrolled: 1-line block ×3, first 2 shown]
	v_fmamk_f16 v96, v105, 0xbb64, v86
	v_fmamk_f16 v164, v155, 0xbb64, v85
	;; [unrolled: 1-line block ×3, first 2 shown]
	v_fmac_f16_e32 v165, 0xb9a8, v157
	v_fmac_f16_e32 v166, 0xbb64, v159
	v_fmamk_f16 v157, v169, 0x361f, v56
	v_fmac_f16_e32 v168, 0x3b64, v158
	v_fmamk_f16 v158, v170, 0x361f, v57
	v_fmamk_f16 v159, v188, 0x3b64, v49
	v_fmamk_f16 v160, v189, 0x3b64, v48
	v_pack_b32_f16 v62, v172, v95
	v_pack_b32_f16 v65, v173, v177
	;; [unrolled: 1-line block ×4, first 2 shown]
	v_add_nc_u32_e32 v92, 0x400, v162
	v_pack_b32_f16 v93, v100, v101
	v_pack_b32_f16 v94, v98, v99
	v_add_nc_u32_e32 v95, 0x800, v162
	v_fmac_f16_e32 v96, 0xb61f, v155
	v_fmac_f16_e32 v164, 0x361f, v105
	;; [unrolled: 1-line block ×3, first 2 shown]
	v_sub_f16_e32 v155, v69, v70
	v_add_f16_e32 v156, v64, v71
	v_fmac_f16_e32 v157, 0xbb64, v170
	v_fmac_f16_e32 v158, 0x3b64, v169
	;; [unrolled: 1-line block ×5, first 2 shown]
	ds_write2_b32 v162, v62, v65 offset1:140
	ds_write2_b32 v92, v66, v91 offset0:24 offset1:164
	ds_write2_b32 v95, v93, v94 offset0:48 offset1:188
	v_pack_b32_f16 v62, v97, v103
	v_pack_b32_f16 v65, v104, v110
	v_add_nc_u32_e32 v66, 0xc00, v162
	v_pack_b32_f16 v91, v102, v109
	v_pack_b32_f16 v92, v175, v176
	v_add_nc_u32_e32 v93, 0x1000, v162
	;; [unrolled: 3-line block ×5, first 2 shown]
	ds_write2_b32 v66, v62, v65 offset0:72 offset1:212
	ds_write2_b32 v93, v91, v92 offset0:96 offset1:236
	;; [unrolled: 1-line block ×5, first 2 shown]
	s_and_saveexec_b32 s2, s1
	s_cbranch_execz .LBB0_15
; %bb.14:
	v_fma_f16 v54, v54, 2.0, -v69
	v_fma_f16 v55, v55, 2.0, -v71
	;; [unrolled: 1-line block ×6, first 2 shown]
	v_sub_f16_e32 v55, v54, v55
	v_mad_u16 v68, 0x8c0, v140, v141
	v_sub_f16_e32 v53, v52, v53
	v_mov_b32_e32 v69, 2
	v_fma_f16 v66, v67, 2.0, -v165
	v_fma_f16 v67, v86, 2.0, -v96
	;; [unrolled: 1-line block ×7, first 2 shown]
	v_lshlrev_b32_sdwa v68, v69, v68 dst_sel:DWORD dst_unused:UNUSED_PAD src0_sel:DWORD src1_sel:WORD_0
	v_fma_f16 v56, v56, 2.0, -v157
	v_fma_f16 v57, v57, 2.0, -v158
	;; [unrolled: 1-line block ×7, first 2 shown]
	v_pack_b32_f16 v52, v54, v52
	v_pack_b32_f16 v54, v67, v70
	;; [unrolled: 1-line block ×4, first 2 shown]
	v_add_nc_u32_e32 v65, 0x400, v68
	v_pack_b32_f16 v62, v62, v64
	v_pack_b32_f16 v56, v56, v57
	v_add_nc_u32_e32 v57, 0x800, v68
	v_pack_b32_f16 v51, v60, v51
	v_pack_b32_f16 v48, v49, v48
	v_add_nc_u32_e32 v49, 0xc00, v68
	ds_write2_b32 v68, v52, v54 offset1:140
	ds_write2_b32 v65, v61, v63 offset0:24 offset1:164
	ds_write2_b32 v57, v62, v56 offset0:48 offset1:188
	v_pack_b32_f16 v52, v55, v53
	v_perm_b32 v53, v164, v96, 0x5040100
	v_add_nc_u32_e32 v54, 0x1000, v68
	v_perm_b32 v55, v167, v165, 0x5040100
	v_perm_b32 v56, v168, v166, 0x5040100
	v_add_nc_u32_e32 v57, 0x1500, v68
	v_perm_b32 v60, v156, v155, 0x5040100
	;; [unrolled: 3-line block ×3, first 2 shown]
	v_perm_b32 v64, v160, v159, 0x5040100
	v_add_nc_u32_e32 v65, 0x1e00, v68
	ds_write2_b32 v49, v51, v48 offset0:72 offset1:212
	ds_write2_b32 v54, v52, v53 offset0:96 offset1:236
	;; [unrolled: 1-line block ×5, first 2 shown]
.LBB0_15:
	s_or_b32 exec_lo, exec_lo, s2
	v_lshlrev_b32_e32 v48, 2, v113
	v_lshlrev_b32_e32 v50, 2, v50
	;; [unrolled: 1-line block ×3, first 2 shown]
	s_waitcnt lgkmcnt(0)
	s_barrier
	v_add_co_u32 v48, s2, s4, v48
	v_add_co_ci_u32_e64 v49, null, s5, 0, s2
	buffer_gl0_inv
	v_add_co_u32 v52, s2, 0x2000, v48
	v_add_co_ci_u32_e64 v53, s2, 0, v49, s2
	v_add_co_u32 v48, s2, s4, v145
	v_add_co_ci_u32_e64 v49, null, s5, 0, s2
	v_add_co_u32 v48, s2, 0x2000, v48
	v_add_co_ci_u32_e64 v49, s2, 0, v49, s2
	v_add_co_u32 v54, s2, s4, v50
	v_add_co_ci_u32_e64 v55, null, s5, 0, s2
	global_load_dwordx4 v[48:51], v[48:49], off offset:752
	v_add_co_u32 v54, s2, 0x2000, v54
	v_add_co_ci_u32_e64 v55, s2, 0, v55, s2
	s_clause 0x1
	global_load_dwordx4 v[64:67], v[52:53], off offset:752
	global_load_dwordx4 v[60:63], v[54:55], off offset:752
	v_add_co_u32 v52, s2, s4, v56
	v_add_co_ci_u32_e64 v53, null, s5, 0, s2
	v_lshlrev_b32_e32 v54, 2, v58
	v_add_co_u32 v52, s2, 0x2000, v52
	v_add_co_ci_u32_e64 v53, s2, 0, v53, s2
	v_add_co_u32 v54, s2, s4, v54
	v_add_co_ci_u32_e64 v55, null, s5, 0, s2
	global_load_dwordx4 v[56:59], v[52:53], off offset:752
	v_add_co_u32 v52, s2, 0x2000, v54
	v_add_co_ci_u32_e64 v53, s2, 0, v55, s2
	global_load_dwordx4 v[52:55], v[52:53], off offset:752
	ds_read2st64_b32 v[85:86], v113 offset1:7
	ds_read2st64_b32 v[68:69], v113 offset0:28 offset1:35
	ds_read2st64_b32 v[105:106], v113 offset0:70 offset1:77
	;; [unrolled: 1-line block ×11, first 2 shown]
	ds_read_b32 v104, v113 offset:43008
	s_waitcnt lgkmcnt(12)
	v_lshrrev_b32_e32 v95, 16, v85
	s_waitcnt lgkmcnt(11)
	v_lshrrev_b32_e32 v181, 16, v69
	;; [unrolled: 2-line block ×6, first 2 shown]
	v_lshrrev_b32_e32 v186, 16, v106
	s_waitcnt lgkmcnt(6)
	v_lshrrev_b32_e32 v187, 16, v171
	v_lshrrev_b32_e32 v188, 16, v110
	;; [unrolled: 1-line block ×4, first 2 shown]
	s_waitcnt lgkmcnt(4)
	v_lshrrev_b32_e32 v190, 16, v173
	v_lshrrev_b32_e32 v191, 16, v172
	s_waitcnt lgkmcnt(3)
	v_lshrrev_b32_e32 v192, 16, v175
	s_waitcnt lgkmcnt(2)
	;; [unrolled: 2-line block ×3, first 2 shown]
	v_lshrrev_b32_e32 v195, 16, v179
	v_lshrrev_b32_e32 v101, 16, v178
	s_waitcnt lgkmcnt(0)
	v_lshrrev_b32_e32 v198, 16, v104
	v_lshrrev_b32_e32 v94, 16, v86
	;; [unrolled: 1-line block ×8, first 2 shown]
	s_waitcnt vmcnt(4)
	v_mul_f16_sdwa v97, v178, v48 dst_sel:DWORD dst_unused:UNUSED_PAD src0_sel:DWORD src1_sel:WORD_1
	v_mul_f16_sdwa v199, v102, v49 dst_sel:DWORD dst_unused:UNUSED_PAD src0_sel:DWORD src1_sel:WORD_1
	v_mul_f16_sdwa v103, v101, v48 dst_sel:DWORD dst_unused:UNUSED_PAD src0_sel:DWORD src1_sel:WORD_1
	v_mul_f16_sdwa v99, v107, v49 dst_sel:DWORD dst_unused:UNUSED_PAD src0_sel:DWORD src1_sel:WORD_1
	v_mul_f16_sdwa v201, v198, v51 dst_sel:DWORD dst_unused:UNUSED_PAD src0_sel:DWORD src1_sel:WORD_1
	v_fmac_f16_e32 v97, v101, v48
	s_waitcnt vmcnt(3)
	v_mul_f16_sdwa v202, v181, v64 dst_sel:DWORD dst_unused:UNUSED_PAD src0_sel:DWORD src1_sel:WORD_1
	v_mul_f16_sdwa v203, v69, v64 dst_sel:DWORD dst_unused:UNUSED_PAD src0_sel:DWORD src1_sel:WORD_1
	;; [unrolled: 1-line block ×8, first 2 shown]
	s_waitcnt vmcnt(2)
	v_mul_f16_sdwa v210, v185, v60 dst_sel:DWORD dst_unused:UNUSED_PAD src0_sel:DWORD src1_sel:WORD_1
	v_mul_f16_sdwa v211, v169, v60 dst_sel:DWORD dst_unused:UNUSED_PAD src0_sel:DWORD src1_sel:WORD_1
	v_mul_f16_sdwa v212, v186, v61 dst_sel:DWORD dst_unused:UNUSED_PAD src0_sel:DWORD src1_sel:WORD_1
	v_mul_f16_sdwa v214, v187, v62 dst_sel:DWORD dst_unused:UNUSED_PAD src0_sel:DWORD src1_sel:WORD_1
	v_mul_f16_sdwa v216, v188, v63 dst_sel:DWORD dst_unused:UNUSED_PAD src0_sel:DWORD src1_sel:WORD_1
	v_mul_f16_sdwa v213, v106, v61 dst_sel:DWORD dst_unused:UNUSED_PAD src0_sel:DWORD src1_sel:WORD_1
	v_mul_f16_sdwa v215, v171, v62 dst_sel:DWORD dst_unused:UNUSED_PAD src0_sel:DWORD src1_sel:WORD_1
	s_waitcnt vmcnt(1)
	v_mul_f16_sdwa v219, v170, v56 dst_sel:DWORD dst_unused:UNUSED_PAD src0_sel:DWORD src1_sel:WORD_1
	v_mul_f16_sdwa v221, v173, v57 dst_sel:DWORD dst_unused:UNUSED_PAD src0_sel:DWORD src1_sel:WORD_1
	;; [unrolled: 1-line block ×9, first 2 shown]
	s_waitcnt vmcnt(0)
	v_mul_f16_sdwa v226, v193, v52 dst_sel:DWORD dst_unused:UNUSED_PAD src0_sel:DWORD src1_sel:WORD_1
	v_mul_f16_sdwa v227, v177, v52 dst_sel:DWORD dst_unused:UNUSED_PAD src0_sel:DWORD src1_sel:WORD_1
	;; [unrolled: 1-line block ×5, first 2 shown]
	v_fma_f16 v101, v107, v49, -v199
	v_fma_f16 v69, v69, v64, -v202
	v_fmac_f16_e32 v203, v181, v64
	v_fma_f16 v105, v105, v65, -v204
	v_fmac_f16_e32 v205, v182, v65
	;; [unrolled: 2-line block ×5, first 2 shown]
	v_fma_f16 v106, v106, v61, -v212
	v_fma_f16 v169, v171, v62, -v214
	;; [unrolled: 1-line block ×3, first 2 shown]
	v_fmac_f16_e32 v219, v189, v56
	v_fmac_f16_e32 v221, v190, v57
	;; [unrolled: 1-line block ×4, first 2 shown]
	v_mul_f16_sdwa v200, v197, v50 dst_sel:DWORD dst_unused:UNUSED_PAD src0_sel:DWORD src1_sel:WORD_1
	v_mul_f16_sdwa v100, v180, v50 dst_sel:DWORD dst_unused:UNUSED_PAD src0_sel:DWORD src1_sel:WORD_1
	;; [unrolled: 1-line block ×6, first 2 shown]
	v_fma_f16 v103, v178, v48, -v103
	v_fma_f16 v104, v104, v51, -v201
	v_fmac_f16_e32 v213, v186, v61
	v_fmac_f16_e32 v215, v187, v62
	;; [unrolled: 1-line block ×3, first 2 shown]
	v_fma_f16 v170, v170, v56, -v218
	v_fma_f16 v171, v173, v57, -v220
	;; [unrolled: 1-line block ×5, first 2 shown]
	v_fmac_f16_e32 v227, v193, v52
	v_fma_f16 v177, v179, v54, -v230
	v_fmac_f16_e32 v231, v195, v54
	v_fmac_f16_e32 v233, v196, v55
	v_add_f16_e32 v178, v85, v69
	v_add_f16_e32 v179, v105, v107
	v_sub_f16_e32 v182, v69, v105
	v_sub_f16_e32 v183, v108, v107
	v_add_f16_e32 v184, v69, v108
	v_sub_f16_e32 v185, v105, v69
	v_sub_f16_e32 v186, v107, v108
	v_add_f16_e32 v187, v95, v203
	v_add_f16_e32 v188, v205, v207
	v_sub_f16_e32 v190, v203, v205
	v_sub_f16_e32 v191, v209, v207
	v_add_f16_e32 v192, v203, v209
	v_add_f16_e32 v195, v86, v109
	;; [unrolled: 1-line block ×7, first 2 shown]
	v_fmac_f16_e32 v99, v102, v49
	v_fma_f16 v102, v180, v50, -v200
	v_fmac_f16_e32 v100, v197, v50
	v_fma_f16 v174, v174, v53, -v228
	v_fmac_f16_e32 v229, v194, v53
	v_sub_f16_e32 v180, v203, v209
	v_sub_f16_e32 v189, v105, v107
	;; [unrolled: 1-line block ×8, first 2 shown]
	v_add_f16_e32 v206, v213, v215
	v_sub_f16_e32 v208, v106, v169
	v_sub_f16_e32 v210, v211, v213
	v_add_f16_e32 v214, v211, v217
	v_sub_f16_e32 v211, v213, v211
	v_sub_f16_e32 v216, v215, v217
	v_add_f16_e32 v218, v70, v170
	v_add_f16_e32 v235, v93, v219
	v_sub_f16_e32 v237, v171, v172
	v_add_f16_e32 v242, v71, v175
	v_add_f16_e32 v251, v92, v227
	;; [unrolled: 1-line block ×3, first 2 shown]
	v_fma_f16 v178, -0.5, v179, v85
	v_add_f16_e32 v179, v182, v183
	v_fma_f16 v85, -0.5, v184, v85
	v_add_f16_e32 v182, v185, v186
	v_add_f16_e32 v183, v187, v205
	v_fma_f16 v184, -0.5, v188, v95
	v_add_f16_e32 v185, v190, v191
	v_fmac_f16_e32 v95, -0.5, v192
	v_add_f16_e32 v106, v195, v106
	v_fma_f16 v187, -0.5, v196, v86
	v_fmac_f16_e32 v86, -0.5, v201
	v_add_f16_e32 v191, v204, v213
	v_fma_f16 v201, -0.5, v236, v93
	v_fmac_f16_e32 v93, -0.5, v240
	v_fma_f16 v176, v176, v55, -v232
	v_sub_f16_e32 v181, v205, v207
	v_sub_f16_e32 v69, v69, v108
	;; [unrolled: 1-line block ×4, first 2 shown]
	v_add_f16_e32 v220, v171, v172
	v_sub_f16_e32 v222, v219, v225
	v_sub_f16_e32 v224, v221, v223
	;; [unrolled: 1-line block ×3, first 2 shown]
	v_add_f16_e32 v230, v170, v173
	v_sub_f16_e32 v232, v171, v170
	v_sub_f16_e32 v170, v170, v173
	v_sub_f16_e32 v238, v219, v221
	v_sub_f16_e32 v219, v221, v219
	v_add_f16_e32 v252, v229, v231
	v_add_f16_e32 v186, v193, v194
	;; [unrolled: 1-line block ×3, first 2 shown]
	v_fma_f16 v192, -0.5, v206, v94
	v_fmac_f16_e32 v94, -0.5, v214
	v_add_f16_e32 v194, v211, v216
	v_add_f16_e32 v171, v218, v171
	;; [unrolled: 1-line block ×6, first 2 shown]
	v_fmamk_f16 v107, v180, 0x3b9c, v178
	v_fmac_f16_e32 v178, 0xbb9c, v180
	v_fmamk_f16 v214, v189, 0x3b9c, v95
	v_fmac_f16_e32 v95, 0xbb9c, v189
	v_add_f16_e32 v106, v106, v169
	v_add_f16_e32 v169, v191, v215
	v_fmamk_f16 v221, v237, 0x3b9c, v93
	v_fmac_f16_e32 v93, 0xbb9c, v237
	v_fmac_f16_e32 v98, v198, v51
	v_sub_f16_e32 v198, v213, v215
	v_sub_f16_e32 v109, v109, v110
	;; [unrolled: 1-line block ×3, first 2 shown]
	v_add_f16_e32 v248, v175, v176
	v_sub_f16_e32 v249, v174, v175
	v_add_f16_e32 v193, v210, v212
	v_fma_f16 v195, -0.5, v220, v70
	v_fma_f16 v212, -0.5, v252, v92
	v_fmamk_f16 v213, v181, 0xbb9c, v85
	v_fmac_f16_e32 v85, 0x3b9c, v181
	v_add_f16_e32 v183, v183, v207
	v_fmamk_f16 v207, v69, 0xbb9c, v184
	v_fmac_f16_e32 v184, 0x3b9c, v69
	v_fmamk_f16 v215, v208, 0x3b9c, v94
	v_fmac_f16_e32 v94, 0xbb9c, v208
	v_add_f16_e32 v171, v171, v172
	v_fmamk_f16 v220, v170, 0xbb9c, v201
	v_fmac_f16_e32 v201, 0x3b9c, v170
	v_add_f16_e32 v204, v204, v177
	v_fmac_f16_e32 v107, 0x38b4, v181
	v_fmac_f16_e32 v178, 0xb8b4, v181
	;; [unrolled: 1-line block ×4, first 2 shown]
	v_add_f16_e32 v69, v106, v110
	v_add_f16_e32 v106, v169, v217
	v_fmac_f16_e32 v221, 0xb8b4, v170
	v_fmac_f16_e32 v93, 0x38b4, v170
	v_sub_f16_e32 v170, v175, v176
	v_add_f16_e32 v169, v211, v231
	v_add_f16_e32 v175, v227, v233
	v_sub_f16_e32 v228, v173, v172
	v_sub_f16_e32 v234, v172, v173
	v_add_f16_e32 v243, v174, v177
	v_sub_f16_e32 v247, v176, v177
	v_sub_f16_e32 v250, v177, v176
	v_fmamk_f16 v191, v109, 0xbb9c, v192
	v_fmac_f16_e32 v192, 0x3b9c, v109
	v_fmac_f16_e32 v213, 0x38b4, v180
	;; [unrolled: 1-line block ×5, first 2 shown]
	v_add_f16_e32 v109, v171, v173
	v_add_f16_e32 v171, v204, v176
	v_fmac_f16_e32 v107, 0x34f2, v179
	v_fmac_f16_e32 v178, 0x34f2, v179
	v_fmamk_f16 v173, v170, 0xbb9c, v212
	v_sub_f16_e32 v174, v174, v177
	v_sub_f16_e32 v176, v227, v229
	;; [unrolled: 1-line block ×3, first 2 shown]
	v_fmac_f16_e32 v92, -0.5, v175
	v_add_f16_e32 v175, v169, v233
	v_fmac_f16_e32 v212, 0x3b9c, v170
	v_sub_f16_e32 v169, v229, v227
	v_sub_f16_e32 v179, v231, v233
	v_add_f16_e32 v180, v101, v102
	v_fmac_f16_e32 v173, 0xb8b4, v174
	v_add_f16_e32 v176, v176, v177
	v_fmamk_f16 v177, v174, 0x3b9c, v92
	v_fmac_f16_e32 v212, 0x38b4, v174
	v_add_f16_e32 v179, v169, v179
	v_fmac_f16_e32 v92, 0xbb9c, v174
	v_add_f16_e32 v174, v68, v103
	v_fma_f16 v169, -0.5, v180, v68
	v_sub_f16_e32 v180, v97, v98
	v_add_f16_e32 v105, v105, v108
	v_add_f16_e32 v108, v183, v209
	v_fmac_f16_e32 v213, 0x34f2, v182
	v_fmac_f16_e32 v85, 0x34f2, v182
	;; [unrolled: 1-line block ×6, first 2 shown]
	v_add_f16_e32 v170, v174, v101
	v_fmamk_f16 v174, v180, 0x3b9c, v169
	v_sub_f16_e32 v176, v99, v100
	v_sub_f16_e32 v181, v103, v101
	;; [unrolled: 1-line block ×3, first 2 shown]
	v_fmac_f16_e32 v169, 0xbb9c, v180
	v_add_f16_e32 v183, v103, v104
	v_add_f16_e32 v170, v170, v102
	v_fmac_f16_e32 v174, 0x38b4, v176
	v_add_f16_e32 v181, v181, v182
	v_fmac_f16_e32 v169, 0xb8b4, v176
	v_fmac_f16_e32 v68, -0.5, v183
	v_sub_f16_e32 v182, v101, v103
	v_sub_f16_e32 v183, v102, v104
	v_fmac_f16_e32 v177, 0x34f2, v179
	v_fmac_f16_e32 v92, 0x34f2, v179
	v_add_f16_e32 v179, v170, v104
	v_fmac_f16_e32 v174, 0x34f2, v181
	v_fmac_f16_e32 v169, 0x34f2, v181
	v_fmamk_f16 v181, v176, 0xbb9c, v68
	v_add_f16_e32 v170, v99, v100
	v_fmac_f16_e32 v68, 0x3b9c, v176
	v_add_f16_e32 v176, v91, v97
	v_sub_f16_e32 v103, v103, v104
	v_add_f16_e32 v104, v182, v183
	v_add_f16_e32 v182, v97, v98
	v_sub_f16_e32 v241, v223, v225
	v_fma_f16 v70, -0.5, v230, v70
	v_fma_f16 v170, -0.5, v170, v91
	v_fmac_f16_e32 v181, 0x38b4, v180
	v_fmac_f16_e32 v68, 0xb8b4, v180
	v_add_f16_e32 v176, v176, v99
	v_sub_f16_e32 v101, v101, v102
	v_fmac_f16_e32 v91, -0.5, v182
	v_sub_f16_e32 v239, v225, v223
	v_sub_f16_e32 v245, v229, v231
	v_fma_f16 v205, -0.5, v243, v71
	v_fmac_f16_e32 v71, -0.5, v248
	v_fmamk_f16 v216, v197, 0x3b9c, v187
	v_fmamk_f16 v172, v222, 0x3b9c, v195
	v_fmac_f16_e32 v207, 0xb8b4, v189
	v_add_f16_e32 v190, v202, v203
	v_add_f16_e32 v203, v219, v241
	v_fmamk_f16 v218, v198, 0xbb9c, v86
	v_fmamk_f16 v219, v224, 0xbb9c, v70
	;; [unrolled: 1-line block ×3, first 2 shown]
	v_fmac_f16_e32 v181, 0x34f2, v104
	v_fmac_f16_e32 v68, 0x34f2, v104
	v_add_f16_e32 v102, v176, v100
	v_sub_f16_e32 v104, v97, v99
	v_sub_f16_e32 v176, v98, v100
	v_fmac_f16_e32 v170, 0x3b9c, v103
	v_sub_f16_e32 v244, v227, v233
	v_fmac_f16_e32 v86, 0x3b9c, v198
	v_fmac_f16_e32 v70, 0x3b9c, v224
	;; [unrolled: 1-line block ×3, first 2 shown]
	v_fmamk_f16 v182, v101, 0x3b9c, v91
	v_sub_f16_e32 v97, v99, v97
	v_sub_f16_e32 v99, v100, v98
	v_fmac_f16_e32 v91, 0xbb9c, v101
	v_add_f16_e32 v196, v226, v228
	v_add_f16_e32 v202, v238, v239
	v_fmac_f16_e32 v187, 0xbb9c, v197
	v_fmac_f16_e32 v195, 0xbb9c, v222
	v_fmamk_f16 v226, v245, 0xbb9c, v71
	v_fmac_f16_e32 v216, 0x38b4, v198
	v_fmac_f16_e32 v191, 0xb8b4, v208
	;; [unrolled: 1-line block ×5, first 2 shown]
	v_add_f16_e32 v199, v232, v234
	v_fmac_f16_e32 v71, 0x3b9c, v245
	v_fmac_f16_e32 v218, 0x38b4, v197
	;; [unrolled: 1-line block ×5, first 2 shown]
	v_add_f16_e32 v100, v104, v176
	v_fmac_f16_e32 v170, 0x38b4, v101
	v_add_f16_e32 v200, v200, v223
	v_fmamk_f16 v223, v244, 0x3b9c, v205
	v_fmac_f16_e32 v205, 0xbb9c, v244
	v_fmac_f16_e32 v86, 0xb8b4, v197
	;; [unrolled: 1-line block ×6, first 2 shown]
	v_add_f16_e32 v97, v97, v99
	v_fmac_f16_e32 v91, 0x38b4, v103
	v_add_f16_e32 v210, v249, v250
	v_fmac_f16_e32 v187, 0xb8b4, v198
	v_fmac_f16_e32 v192, 0x38b4, v208
	;; [unrolled: 1-line block ×9, first 2 shown]
	v_pack_b32_f16 v99, v107, v207
	v_fmac_f16_e32 v218, 0x34f2, v190
	v_fmac_f16_e32 v215, 0x34f2, v194
	;; [unrolled: 1-line block ×7, first 2 shown]
	v_pack_b32_f16 v100, v213, v214
	v_add_f16_e32 v206, v246, v247
	v_fmac_f16_e32 v205, 0xb8b4, v245
	v_fmac_f16_e32 v86, 0x34f2, v190
	;; [unrolled: 1-line block ×5, first 2 shown]
	v_pack_b32_f16 v85, v85, v95
	v_pack_b32_f16 v95, v178, v184
	v_fmac_f16_e32 v182, 0x34f2, v97
	v_fmac_f16_e32 v91, 0x34f2, v97
	v_pack_b32_f16 v97, v105, v108
	v_pack_b32_f16 v69, v69, v106
	v_add_f16_e32 v110, v200, v225
	v_fmac_f16_e32 v187, 0x34f2, v188
	v_fmac_f16_e32 v192, 0x34f2, v193
	;; [unrolled: 1-line block ×5, first 2 shown]
	ds_write_b32 v113, v99 offset:8960
	ds_write_b32 v113, v100 offset:17920
	;; [unrolled: 1-line block ×4, first 2 shown]
	ds_write2st64_b32 v113, v97, v69 offset1:7
	v_pack_b32_f16 v69, v216, v191
	v_pack_b32_f16 v95, v172, v220
	v_fmac_f16_e32 v223, 0x38b4, v245
	v_fmac_f16_e32 v71, 0x34f2, v210
	v_pack_b32_f16 v85, v218, v215
	v_pack_b32_f16 v97, v219, v221
	v_fmac_f16_e32 v205, 0x34f2, v206
	v_pack_b32_f16 v86, v86, v94
	v_pack_b32_f16 v70, v70, v93
	v_add_f16_e32 v98, v102, v98
	v_pack_b32_f16 v94, v187, v192
	v_pack_b32_f16 v93, v109, v110
	;; [unrolled: 1-line block ×3, first 2 shown]
	ds_write2st64_b32 v113, v69, v95 offset0:42 offset1:49
	ds_write2st64_b32 v113, v85, v97 offset0:77 offset1:84
	;; [unrolled: 1-line block ×3, first 2 shown]
	v_pack_b32_f16 v69, v171, v175
	v_pack_b32_f16 v70, v226, v177
	v_fmac_f16_e32 v223, 0x34f2, v206
	v_pack_b32_f16 v71, v71, v92
	v_pack_b32_f16 v85, v205, v212
	ds_write2st64_b32 v113, v94, v99 offset0:147 offset1:154
	ds_write2st64_b32 v113, v93, v69 offset0:14 offset1:21
	ds_write_b32 v113, v70 offset:23296
	ds_write_b32 v113, v71 offset:32256
	;; [unrolled: 1-line block ×3, first 2 shown]
	v_pack_b32_f16 v70, v179, v98
	v_pack_b32_f16 v69, v223, v173
	;; [unrolled: 1-line block ×6, first 2 shown]
	ds_write_b32 v113, v70 offset:7168
	ds_write2st64_b32 v113, v69, v71 offset0:56 offset1:63
	ds_write_b32 v113, v85 offset:25088
	ds_write_b32 v113, v68 offset:34048
	;; [unrolled: 1-line block ×3, first 2 shown]
	v_add_co_u32 v85, s2, 0xa800, v89
	v_add_co_ci_u32_e64 v86, s2, 0, v90, s2
	v_add_co_u32 v68, s2, 0xaf00, v89
	v_add_co_ci_u32_e64 v69, s2, 0, v90, s2
	;; [unrolled: 2-line block ×6, first 2 shown]
	v_add_co_u32 v99, s2, 0x13800, v89
	s_waitcnt lgkmcnt(0)
	s_barrier
	buffer_gl0_inv
	global_load_dword v95, v[85:86], off offset:1792
	v_add_co_ci_u32_e64 v100, s2, 0, v90, s2
	v_add_co_u32 v101, s2, 0xb800, v89
	v_add_co_ci_u32_e64 v102, s2, 0, v90, s2
	s_clause 0x6
	global_load_dword v175, v[70:71], off offset:1664
	global_load_dword v176, v[91:92], off offset:576
	;; [unrolled: 1-line block ×7, first 2 shown]
	v_add_co_u32 v70, s2, 0xd800, v89
	v_add_co_ci_u32_e64 v71, s2, 0, v90, s2
	v_add_co_u32 v91, s2, 0xe800, v89
	v_add_co_ci_u32_e64 v92, s2, 0, v90, s2
	s_clause 0x1
	global_load_dword v181, v[70:71], off offset:704
	global_load_dword v182, v[91:92], off offset:192
	v_add_co_u32 v70, s2, 0x14000, v89
	v_add_co_ci_u32_e64 v71, s2, 0, v90, s2
	v_add_co_u32 v93, s2, 0xc000, v89
	v_add_co_ci_u32_e64 v94, s2, 0, v90, s2
	;; [unrolled: 2-line block ×5, first 2 shown]
	s_clause 0x6
	global_load_dword v183, v[70:71], off offset:64
	global_load_dword v184, v[97:98], off offset:896
	;; [unrolled: 1-line block ×7, first 2 shown]
	v_add_co_u32 v70, s2, 0xf000, v89
	v_add_co_ci_u32_e64 v71, s2, 0, v90, s2
	v_add_co_u32 v91, s2, 0x12000, v89
	v_add_co_ci_u32_e64 v92, s2, 0, v90, s2
	;; [unrolled: 2-line block ×3, first 2 shown]
	s_clause 0x2
	global_load_dword v190, v[70:71], off offset:1728
	global_load_dword v191, v[91:92], off offset:640
	;; [unrolled: 1-line block ×3, first 2 shown]
	v_add_co_u32 v70, s2, 0xd000, v89
	v_add_co_ci_u32_e64 v71, s2, 0, v90, s2
	global_load_dword v193, v[70:71], off offset:512
	v_add_co_u32 v70, s2, 0xf800, v89
	v_add_co_ci_u32_e64 v71, s2, 0, v90, s2
	global_load_dword v194, v[70:71], off offset:1472
	v_add_co_u32 v70, s2, 0x12800, v89
	v_add_co_ci_u32_e64 v71, s2, 0, v90, s2
	v_add_co_u32 v89, s2, 0x15000, v89
	v_add_co_ci_u32_e64 v90, s2, 0, v90, s2
	s_clause 0x1
	global_load_dword v195, v[70:71], off offset:384
	global_load_dword v196, v[89:90], off offset:1344
	ds_read2st64_b32 v[89:90], v113 offset1:7
	s_waitcnt lgkmcnt(0)
	v_lshrrev_b32_e32 v70, 16, v89
	s_waitcnt vmcnt(23)
	v_mul_f16_sdwa v71, v70, v95 dst_sel:DWORD dst_unused:UNUSED_PAD src0_sel:DWORD src1_sel:WORD_1
	v_mul_f16_sdwa v91, v89, v95 dst_sel:DWORD dst_unused:UNUSED_PAD src0_sel:DWORD src1_sel:WORD_1
	v_fma_f16 v71, v89, v95, -v71
	v_fmac_f16_e32 v91, v70, v95
	v_lshrrev_b32_e32 v95, 16, v90
	v_add_nc_u32_e32 v70, 0xc0, v113
	v_add_nc_u32_e32 v89, 64, v113
	s_waitcnt vmcnt(16)
	v_mul_f16_sdwa v100, v90, v103 dst_sel:DWORD dst_unused:UNUSED_PAD src0_sel:DWORD src1_sel:WORD_1
	v_pack_b32_f16 v91, v71, v91
	v_add_nc_u32_e32 v71, 0x80, v113
	v_mul_f16_sdwa v99, v95, v103 dst_sel:DWORD dst_unused:UNUSED_PAD src0_sel:DWORD src1_sel:WORD_1
	v_fmac_f16_e32 v100, v95, v103
	ds_write_b32 v113, v91
	ds_read2st64_b32 v[91:92], v70 offset0:43 offset1:50
	ds_read2st64_b32 v[93:94], v71 offset0:87 offset1:94
	;; [unrolled: 1-line block ×3, first 2 shown]
	v_fma_f16 v90, v90, v103, -v99
	v_pack_b32_f16 v90, v90, v100
	ds_read2st64_b32 v[99:100], v113 offset0:14 offset1:21
	ds_read2st64_b32 v[101:102], v70 offset0:57 offset1:64
	;; [unrolled: 1-line block ×8, first 2 shown]
	s_waitcnt lgkmcnt(10)
	v_lshrrev_b32_e32 v95, 16, v91
	s_waitcnt vmcnt(15)
	v_mul_f16_sdwa v197, v91, v181 dst_sel:DWORD dst_unused:UNUSED_PAD src0_sel:DWORD src1_sel:WORD_1
	s_waitcnt lgkmcnt(9)
	v_lshrrev_b32_e32 v198, 16, v93
	v_mul_f16_sdwa v199, v93, v175 dst_sel:DWORD dst_unused:UNUSED_PAD src0_sel:DWORD src1_sel:WORD_1
	s_waitcnt lgkmcnt(8)
	v_lshrrev_b32_e32 v200, 16, v97
	v_mul_f16_sdwa v201, v97, v176 dst_sel:DWORD dst_unused:UNUSED_PAD src0_sel:DWORD src1_sel:WORD_1
	v_lshrrev_b32_e32 v202, 16, v92
	v_mul_f16_sdwa v203, v92, v177 dst_sel:DWORD dst_unused:UNUSED_PAD src0_sel:DWORD src1_sel:WORD_1
	;; [unrolled: 2-line block ×4, first 2 shown]
	s_waitcnt lgkmcnt(7)
	v_lshrrev_b32_e32 v208, 16, v99
	v_mul_f16_sdwa v209, v99, v180 dst_sel:DWORD dst_unused:UNUSED_PAD src0_sel:DWORD src1_sel:WORD_1
	s_waitcnt lgkmcnt(6)
	v_lshrrev_b32_e32 v210, 16, v101
	s_waitcnt vmcnt(14)
	v_mul_f16_sdwa v211, v101, v182 dst_sel:DWORD dst_unused:UNUSED_PAD src0_sel:DWORD src1_sel:WORD_1
	s_waitcnt lgkmcnt(5)
	v_lshrrev_b32_e32 v212, 16, v103
	s_waitcnt vmcnt(8)
	v_mul_f16_sdwa v213, v103, v188 dst_sel:DWORD dst_unused:UNUSED_PAD src0_sel:DWORD src1_sel:WORD_1
	s_waitcnt lgkmcnt(4)
	v_lshrrev_b32_e32 v214, 16, v105
	v_mul_f16_sdwa v215, v105, v183 dst_sel:DWORD dst_unused:UNUSED_PAD src0_sel:DWORD src1_sel:WORD_1
	v_lshrrev_b32_e32 v216, 16, v100
	v_mul_f16_sdwa v217, v100, v186 dst_sel:DWORD dst_unused:UNUSED_PAD src0_sel:DWORD src1_sel:WORD_1
	v_lshrrev_b32_e32 v218, 16, v102
	s_waitcnt vmcnt(7)
	v_mul_f16_sdwa v219, v102, v189 dst_sel:DWORD dst_unused:UNUSED_PAD src0_sel:DWORD src1_sel:WORD_1
	v_lshrrev_b32_e32 v220, 16, v104
	v_mul_f16_sdwa v221, v104, v184 dst_sel:DWORD dst_unused:UNUSED_PAD src0_sel:DWORD src1_sel:WORD_1
	v_lshrrev_b32_e32 v222, 16, v106
	v_mul_f16_sdwa v234, v95, v181 dst_sel:DWORD dst_unused:UNUSED_PAD src0_sel:DWORD src1_sel:WORD_1
	v_fmac_f16_e32 v197, v95, v181
	v_mul_f16_sdwa v95, v198, v175 dst_sel:DWORD dst_unused:UNUSED_PAD src0_sel:DWORD src1_sel:WORD_1
	v_fmac_f16_e32 v199, v198, v175
	;; [unrolled: 2-line block ×11, first 2 shown]
	v_mul_f16_sdwa v216, v218, v189 dst_sel:DWORD dst_unused:UNUSED_PAD src0_sel:DWORD src1_sel:WORD_1
	v_mul_f16_sdwa v223, v106, v187 dst_sel:DWORD dst_unused:UNUSED_PAD src0_sel:DWORD src1_sel:WORD_1
	v_fmac_f16_e32 v219, v218, v189
	v_mul_f16_sdwa v218, v220, v184 dst_sel:DWORD dst_unused:UNUSED_PAD src0_sel:DWORD src1_sel:WORD_1
	v_fmac_f16_e32 v221, v220, v184
	v_mul_f16_sdwa v220, v222, v187 dst_sel:DWORD dst_unused:UNUSED_PAD src0_sel:DWORD src1_sel:WORD_1
	v_fma_f16 v91, v91, v181, -v234
	v_fma_f16 v92, v92, v177, -v200
	;; [unrolled: 1-line block ×9, first 2 shown]
	v_fmac_f16_e32 v223, v222, v187
	v_fma_f16 v101, v103, v188, -v210
	v_fma_f16 v103, v105, v183, -v212
	;; [unrolled: 1-line block ×4, first 2 shown]
	v_pack_b32_f16 v91, v91, v197
	v_pack_b32_f16 v92, v92, v203
	;; [unrolled: 1-line block ×4, first 2 shown]
	s_waitcnt lgkmcnt(3)
	v_lshrrev_b32_e32 v224, 16, v107
	v_pack_b32_f16 v95, v95, v201
	v_pack_b32_f16 v97, v97, v207
	v_lshrrev_b32_e32 v232, 16, v108
	v_pack_b32_f16 v98, v98, v209
	v_mul_f16_sdwa v225, v107, v185 dst_sel:DWORD dst_unused:UNUSED_PAD src0_sel:DWORD src1_sel:WORD_1
	s_waitcnt lgkmcnt(2)
	v_lshrrev_b32_e32 v226, 16, v109
	v_lshrrev_b32_e32 v233, 16, v110
	v_pack_b32_f16 v99, v99, v211
	v_pack_b32_f16 v102, v102, v219
	s_waitcnt vmcnt(6)
	v_mul_f16_sdwa v227, v109, v190 dst_sel:DWORD dst_unused:UNUSED_PAD src0_sel:DWORD src1_sel:WORD_1
	s_waitcnt lgkmcnt(1)
	v_lshrrev_b32_e32 v228, 16, v171
	v_pack_b32_f16 v101, v101, v213
	v_pack_b32_f16 v103, v103, v215
	;; [unrolled: 1-line block ×4, first 2 shown]
	ds_write2st64_b32 v70, v91, v92 offset0:43 offset1:50
	ds_write2st64_b32 v71, v93, v94 offset0:87 offset1:94
	ds_write2st64_b32 v89, v95, v97 offset0:131 offset1:138
	ds_write2st64_b32 v113, v90, v98 offset0:7 offset1:14
	ds_write2st64_b32 v70, v99, v102 offset0:57 offset1:64
	ds_write2st64_b32 v71, v101, v104 offset0:101 offset1:108
	ds_write2st64_b32 v89, v103, v105 offset0:145 offset1:152
	v_lshrrev_b32_e32 v93, 16, v172
	s_waitcnt vmcnt(5)
	v_mul_f16_sdwa v229, v171, v191 dst_sel:DWORD dst_unused:UNUSED_PAD src0_sel:DWORD src1_sel:WORD_1
	s_waitcnt lgkmcnt(7)
	v_lshrrev_b32_e32 v230, 16, v173
	v_lshrrev_b32_e32 v94, 16, v174
	v_mul_f16_sdwa v222, v224, v185 dst_sel:DWORD dst_unused:UNUSED_PAD src0_sel:DWORD src1_sel:WORD_1
	s_waitcnt vmcnt(3)
	v_mul_f16_sdwa v235, v232, v193 dst_sel:DWORD dst_unused:UNUSED_PAD src0_sel:DWORD src1_sel:WORD_1
	v_mul_f16_sdwa v90, v108, v193 dst_sel:DWORD dst_unused:UNUSED_PAD src0_sel:DWORD src1_sel:WORD_1
	v_fmac_f16_e32 v225, v224, v185
	v_mul_f16_sdwa v224, v226, v190 dst_sel:DWORD dst_unused:UNUSED_PAD src0_sel:DWORD src1_sel:WORD_1
	s_waitcnt vmcnt(2)
	v_mul_f16_sdwa v91, v233, v194 dst_sel:DWORD dst_unused:UNUSED_PAD src0_sel:DWORD src1_sel:WORD_1
	v_mul_f16_sdwa v95, v110, v194 dst_sel:DWORD dst_unused:UNUSED_PAD src0_sel:DWORD src1_sel:WORD_1
	v_fmac_f16_e32 v227, v226, v190
	v_mul_f16_sdwa v226, v228, v191 dst_sel:DWORD dst_unused:UNUSED_PAD src0_sel:DWORD src1_sel:WORD_1
	s_waitcnt vmcnt(1)
	v_mul_f16_sdwa v97, v93, v195 dst_sel:DWORD dst_unused:UNUSED_PAD src0_sel:DWORD src1_sel:WORD_1
	v_mul_f16_sdwa v98, v172, v195 dst_sel:DWORD dst_unused:UNUSED_PAD src0_sel:DWORD src1_sel:WORD_1
	v_mul_f16_sdwa v231, v173, v192 dst_sel:DWORD dst_unused:UNUSED_PAD src0_sel:DWORD src1_sel:WORD_1
	v_fmac_f16_e32 v229, v228, v191
	v_mul_f16_sdwa v228, v230, v192 dst_sel:DWORD dst_unused:UNUSED_PAD src0_sel:DWORD src1_sel:WORD_1
	s_waitcnt vmcnt(0)
	v_mul_f16_sdwa v99, v94, v196 dst_sel:DWORD dst_unused:UNUSED_PAD src0_sel:DWORD src1_sel:WORD_1
	v_mul_f16_sdwa v101, v174, v196 dst_sel:DWORD dst_unused:UNUSED_PAD src0_sel:DWORD src1_sel:WORD_1
	v_fma_f16 v100, v100, v186, -v214
	v_fma_f16 v106, v107, v185, -v222
	;; [unrolled: 1-line block ×3, first 2 shown]
	v_fmac_f16_e32 v90, v232, v193
	v_fma_f16 v107, v109, v190, -v224
	v_fma_f16 v91, v110, v194, -v91
	v_fmac_f16_e32 v95, v233, v194
	v_fma_f16 v109, v171, v191, -v226
	v_fma_f16 v97, v172, v195, -v97
	v_fmac_f16_e32 v98, v93, v195
	v_fma_f16 v171, v173, v192, -v228
	v_fmac_f16_e32 v231, v230, v192
	v_fma_f16 v93, v174, v196, -v99
	v_fmac_f16_e32 v101, v94, v196
	v_pack_b32_f16 v100, v100, v217
	v_pack_b32_f16 v106, v106, v225
	;; [unrolled: 1-line block ×9, first 2 shown]
	ds_write2st64_b32 v113, v100, v106 offset0:21 offset1:28
	ds_write_b32 v113, v90 offset:8960
	ds_write2st64_b32 v70, v107, v91 offset0:71 offset1:78
	ds_write2st64_b32 v71, v109, v92 offset0:115 offset1:122
	ds_write2st64_b32 v89, v94, v93 offset0:159 offset1:166
	s_and_saveexec_b32 s3, vcc_lo
	s_cbranch_execz .LBB0_17
; %bb.16:
	v_add_co_u32 v90, s2, 0x2800, v68
	v_add_co_ci_u32_e64 v91, s2, 0, v69, s2
	global_load_dword v94, v[90:91], off offset:512
	v_add_co_u32 v90, s2, 0x5000, v68
	v_add_co_ci_u32_e64 v91, s2, 0, v69, s2
	v_add_co_u32 v92, s2, 0x8000, v68
	v_add_co_ci_u32_e64 v93, s2, 0, v69, s2
	;; [unrolled: 2-line block ×3, first 2 shown]
	s_clause 0x2
	global_load_dword v90, v[90:91], off offset:1472
	global_load_dword v91, v[92:93], off offset:384
	;; [unrolled: 1-line block ×3, first 2 shown]
	ds_read_b32 v69, v113 offset:10752
	ds_read_b32 v92, v113 offset:21952
	;; [unrolled: 1-line block ×4, first 2 shown]
	s_waitcnt lgkmcnt(3)
	v_lshrrev_b32_e32 v97, 16, v69
	s_waitcnt lgkmcnt(2)
	v_lshrrev_b32_e32 v98, 16, v92
	;; [unrolled: 2-line block ×4, first 2 shown]
	s_waitcnt vmcnt(3)
	v_mul_f16_sdwa v101, v97, v94 dst_sel:DWORD dst_unused:UNUSED_PAD src0_sel:DWORD src1_sel:WORD_1
	v_mul_f16_sdwa v102, v69, v94 dst_sel:DWORD dst_unused:UNUSED_PAD src0_sel:DWORD src1_sel:WORD_1
	v_fma_f16 v69, v69, v94, -v101
	v_fmac_f16_e32 v102, v97, v94
	s_waitcnt vmcnt(2)
	v_mul_f16_sdwa v103, v98, v90 dst_sel:DWORD dst_unused:UNUSED_PAD src0_sel:DWORD src1_sel:WORD_1
	v_mul_f16_sdwa v104, v92, v90 dst_sel:DWORD dst_unused:UNUSED_PAD src0_sel:DWORD src1_sel:WORD_1
	s_waitcnt vmcnt(1)
	v_mul_f16_sdwa v105, v99, v91 dst_sel:DWORD dst_unused:UNUSED_PAD src0_sel:DWORD src1_sel:WORD_1
	v_mul_f16_sdwa v106, v93, v91 dst_sel:DWORD dst_unused:UNUSED_PAD src0_sel:DWORD src1_sel:WORD_1
	;; [unrolled: 3-line block ×3, first 2 shown]
	v_fma_f16 v92, v92, v90, -v103
	v_fmac_f16_e32 v104, v98, v90
	v_fma_f16 v90, v93, v91, -v105
	v_fmac_f16_e32 v106, v99, v91
	;; [unrolled: 2-line block ×3, first 2 shown]
	v_pack_b32_f16 v68, v69, v102
	v_pack_b32_f16 v69, v92, v104
	;; [unrolled: 1-line block ×4, first 2 shown]
	ds_write_b32 v113, v68 offset:10752
	ds_write_b32 v113, v69 offset:21952
	;; [unrolled: 1-line block ×4, first 2 shown]
.LBB0_17:
	s_or_b32 exec_lo, exec_lo, s3
	s_waitcnt lgkmcnt(0)
	s_barrier
	buffer_gl0_inv
	ds_read2st64_b32 v[101:102], v113 offset1:7
	ds_read2st64_b32 v[103:104], v70 offset0:43 offset1:50
	ds_read2st64_b32 v[107:108], v71 offset0:87 offset1:94
	;; [unrolled: 1-line block ×11, first 2 shown]
	v_add_nc_u32_e32 v172, 0x8c00, v111
	s_and_saveexec_b32 s2, vcc_lo
	s_cbranch_execz .LBB0_19
; %bb.18:
	ds_read_b32 v169, v113 offset:10752
	ds_read_b32 v96, v113 offset:21952
	;; [unrolled: 1-line block ×4, first 2 shown]
	s_waitcnt lgkmcnt(3)
	v_lshrrev_b32_e32 v170, 16, v169
	s_waitcnt lgkmcnt(2)
	v_lshrrev_b32_e32 v164, 16, v96
	s_waitcnt lgkmcnt(1)
	v_lshrrev_b32_e32 v167, 16, v165
	s_waitcnt lgkmcnt(0)
	v_lshrrev_b32_e32 v168, 16, v166
.LBB0_19:
	s_or_b32 exec_lo, exec_lo, s2
	s_waitcnt lgkmcnt(9)
	v_pk_add_f16 v108, v102, v108 neg_lo:[0,1] neg_hi:[0,1]
	v_pk_add_f16 v107, v101, v107 neg_lo:[0,1] neg_hi:[0,1]
	s_waitcnt lgkmcnt(8)
	v_pk_add_f16 v110, v104, v110 neg_lo:[0,1] neg_hi:[0,1]
	s_waitcnt lgkmcnt(4)
	v_pk_add_f16 v174, v99, v94 neg_lo:[0,1] neg_hi:[0,1]
	v_pk_add_f16 v109, v103, v109 neg_lo:[0,1] neg_hi:[0,1]
	v_lshrrev_b32_e32 v94, 16, v108
	v_pk_add_f16 v173, v97, v105 neg_lo:[0,1] neg_hi:[0,1]
	v_lshrrev_b32_e32 v89, 16, v107
	s_waitcnt lgkmcnt(1)
	v_pk_add_f16 v187, v68, v70 neg_lo:[0,1] neg_hi:[0,1]
	v_pk_add_f16 v181, v98, v106 neg_lo:[0,1] neg_hi:[0,1]
	v_sub_f16_e32 v178, v94, v110
	v_lshrrev_b32_e32 v171, 16, v173
	v_sub_f16_e32 v176, v89, v109
	s_waitcnt lgkmcnt(0)
	v_pk_add_f16 v92, v90, v92 neg_lo:[0,1] neg_hi:[0,1]
	v_lshrrev_b32_e32 v70, 16, v187
	v_fma_f16 v183, v94, 2.0, -v178
	v_pk_add_f16 v71, v69, v71 neg_lo:[0,1] neg_hi:[0,1]
	v_pk_add_f16 v94, v91, v93 neg_lo:[0,1] neg_hi:[0,1]
	v_fma_f16 v180, v89, 2.0, -v176
	v_sub_f16_e32 v184, v171, v174
	v_pk_add_f16 v185, v100, v95 neg_lo:[0,1] neg_hi:[0,1]
	v_lshrrev_b32_e32 v89, 16, v181
	v_sub_f16_e32 v193, v70, v92
	v_pk_fma_f16 v69, v69, 2.0, v71 op_sel_hi:[1,0,1] neg_lo:[0,0,1] neg_hi:[0,0,1]
	v_pk_fma_f16 v91, v91, 2.0, v94 op_sel_hi:[1,0,1] neg_lo:[0,0,1] neg_hi:[0,0,1]
	v_lshrrev_b32_e32 v95, 16, v71
	v_fma_f16 v188, v171, 2.0, -v184
	v_sub_f16_e32 v190, v89, v185
	v_fma_f16 v196, v70, 2.0, -v193
	v_pk_add_f16 v70, v69, v91 neg_lo:[0,1] neg_hi:[0,1]
	v_add_f16_sdwa v93, v71, v94 dst_sel:DWORD dst_unused:UNUSED_PAD src0_sel:DWORD src1_sel:WORD_1
	v_sub_f16_e32 v171, v95, v94
	v_sub_f16_e32 v91, v169, v165
	;; [unrolled: 1-line block ×3, first 2 shown]
	v_fma_f16 v194, v89, 2.0, -v190
	v_sub_f16_e32 v165, v164, v168
	v_fma_f16 v89, v71, 2.0, -v93
	v_fma_f16 v71, v169, 2.0, -v91
	v_fma_f16 v96, v96, 2.0, -v94
	v_add_f16_sdwa v105, v107, v109 dst_sel:DWORD dst_unused:UNUSED_PAD src0_sel:DWORD src1_sel:WORD_1
	v_sub_f16_e32 v106, v170, v167
	v_fma_f16 v166, v164, 2.0, -v165
	v_fma_f16 v164, v95, 2.0, -v171
	v_pk_fma_f16 v101, v101, 2.0, v107 op_sel_hi:[1,0,1] neg_lo:[0,0,1] neg_hi:[0,0,1]
	v_pk_fma_f16 v95, v103, 2.0, v109 op_sel_hi:[1,0,1] neg_lo:[0,0,1] neg_hi:[0,0,1]
	v_sub_f16_e32 v96, v71, v96
	v_add_f16_e32 v165, v165, v91
	v_fma_f16 v177, v107, 2.0, -v105
	v_sub_f16_e32 v167, v106, v94
	v_pk_add_f16 v103, v101, v95 neg_lo:[0,1] neg_hi:[0,1]
	v_fma_f16 v94, v71, 2.0, -v96
	v_fma_f16 v95, v91, 2.0, -v165
	v_pk_fma_f16 v71, v102, 2.0, v108 op_sel_hi:[1,0,1] neg_lo:[0,0,1] neg_hi:[0,0,1]
	v_pk_fma_f16 v91, v104, 2.0, v110 op_sel_hi:[1,0,1] neg_lo:[0,0,1] neg_hi:[0,0,1]
	;; [unrolled: 1-line block ×3, first 2 shown]
	v_pack_b32_f16 v104, v105, v176
	v_pack_b32_f16 v102, v177, v180
	v_fma_f16 v168, v170, 2.0, -v106
	v_pk_add_f16 v105, v71, v91 neg_lo:[0,1] neg_hi:[0,1]
	v_add_f16_sdwa v175, v108, v110 dst_sel:DWORD dst_unused:UNUSED_PAD src0_sel:DWORD src1_sel:WORD_1
	v_add_f16_sdwa v182, v173, v174 dst_sel:DWORD dst_unused:UNUSED_PAD src0_sel:DWORD src1_sel:WORD_1
	v_pk_fma_f16 v91, v97, 2.0, v173 op_sel_hi:[1,0,1] neg_lo:[0,0,1] neg_hi:[0,0,1]
	v_pk_fma_f16 v97, v99, 2.0, v174 op_sel_hi:[1,0,1] neg_lo:[0,0,1] neg_hi:[0,0,1]
	v_add_f16_sdwa v189, v181, v185 dst_sel:DWORD dst_unused:UNUSED_PAD src0_sel:DWORD src1_sel:WORD_1
	s_barrier
	buffer_gl0_inv
	ds_write_b128 v111, v[101:104]
	v_pk_fma_f16 v103, v71, 2.0, v105 op_sel_hi:[1,0,1] neg_lo:[0,0,1] neg_hi:[0,0,1]
	v_pk_fma_f16 v71, v98, 2.0, v181 op_sel_hi:[1,0,1] neg_lo:[0,0,1] neg_hi:[0,0,1]
	;; [unrolled: 1-line block ×3, first 2 shown]
	v_add_f16_sdwa v192, v187, v92 dst_sel:DWORD dst_unused:UNUSED_PAD src0_sel:DWORD src1_sel:WORD_1
	v_sub_f16_e32 v166, v168, v166
	v_pk_fma_f16 v68, v68, 2.0, v187 op_sel_hi:[1,0,1] neg_lo:[0,0,1] neg_hi:[0,0,1]
	v_pk_fma_f16 v90, v90, 2.0, v92 op_sel_hi:[1,0,1] neg_lo:[0,0,1] neg_hi:[0,0,1]
	v_fma_f16 v179, v108, 2.0, -v175
	v_fma_f16 v186, v173, 2.0, -v182
	v_pk_add_f16 v99, v91, v97 neg_lo:[0,1] neg_hi:[0,1]
	v_fma_f16 v191, v181, 2.0, -v189
	v_pk_add_f16 v109, v71, v98 neg_lo:[0,1] neg_hi:[0,1]
	v_fma_f16 v195, v187, 2.0, -v192
	v_fma_f16 v169, v168, 2.0, -v166
	;; [unrolled: 1-line block ×3, first 2 shown]
	v_pack_b32_f16 v106, v175, v178
	v_pk_add_f16 v175, v68, v90 neg_lo:[0,1] neg_hi:[0,1]
	v_pack_b32_f16 v104, v179, v183
	v_pk_fma_f16 v97, v91, 2.0, v99 op_sel_hi:[1,0,1] neg_lo:[0,0,1] neg_hi:[0,0,1]
	v_pack_b32_f16 v100, v182, v184
	v_pack_b32_f16 v98, v186, v188
	v_pk_fma_f16 v107, v71, 2.0, v109 op_sel_hi:[1,0,1] neg_lo:[0,0,1] neg_hi:[0,0,1]
	v_pack_b32_f16 v110, v189, v190
	;; [unrolled: 3-line block ×4, first 2 shown]
	v_pack_b32_f16 v69, v89, v164
	ds_write_b128 v112, v[103:106]
	ds_write_b128 v142, v[97:100]
	;; [unrolled: 1-line block ×5, first 2 shown]
	s_and_saveexec_b32 s2, vcc_lo
	s_cbranch_execz .LBB0_21
; %bb.20:
	v_perm_b32 v100, v167, v165, 0x5040100
	v_perm_b32 v99, v166, v96, 0x5040100
	;; [unrolled: 1-line block ×4, first 2 shown]
	ds_write_b128 v144, v[97:100]
.LBB0_21:
	s_or_b32 exec_lo, exec_lo, s2
	s_waitcnt lgkmcnt(0)
	s_barrier
	buffer_gl0_inv
	ds_read2st64_b32 v[91:92], v113 offset1:7
	ds_read2st64_b32 v[68:69], v113 offset0:14 offset1:25
	ds_read2st64_b32 v[111:112], v113 offset0:50 offset1:57
	;; [unrolled: 1-line block ×9, first 2 shown]
	ds_read_b32 v71, v113 offset:41984
	s_and_saveexec_b32 s2, s0
	s_cbranch_execz .LBB0_23
; %bb.22:
	ds_read2st64_b32 v[89:90], v113 offset0:21 offset1:46
	ds_read2st64_b32 v[93:94], v113 offset0:71 offset1:96
	;; [unrolled: 1-line block ×3, first 2 shown]
	ds_read_b32 v165, v113 offset:43776
	s_waitcnt lgkmcnt(3)
	v_lshrrev_b32_e32 v164, 16, v89
	s_waitcnt lgkmcnt(2)
	v_lshrrev_b32_e32 v171, 16, v93
	v_lshrrev_b32_e32 v169, 16, v94
	s_waitcnt lgkmcnt(1)
	v_lshrrev_b32_e32 v168, 16, v95
	;; [unrolled: 3-line block ×3, first 2 shown]
	v_mov_b32_e32 v70, v90
.LBB0_23:
	s_or_b32 exec_lo, exec_lo, s2
	s_waitcnt lgkmcnt(9)
	v_lshrrev_b32_e32 v90, 16, v69
	s_waitcnt lgkmcnt(8)
	v_lshrrev_b32_e32 v142, 16, v111
	;; [unrolled: 2-line block ×4, first 2 shown]
	v_mul_f16_sdwa v183, v0, v69 dst_sel:DWORD dst_unused:UNUSED_PAD src0_sel:WORD_1 src1_sel:DWORD
	v_mul_f16_sdwa v182, v0, v90 dst_sel:DWORD dst_unused:UNUSED_PAD src0_sel:WORD_1 src1_sel:DWORD
	v_mul_f16_sdwa v185, v1, v142 dst_sel:DWORD dst_unused:UNUSED_PAD src0_sel:WORD_1 src1_sel:DWORD
	s_waitcnt lgkmcnt(5)
	v_lshrrev_b32_e32 v145, 16, v100
	v_mul_f16_sdwa v187, v3, v144 dst_sel:DWORD dst_unused:UNUSED_PAD src0_sel:WORD_1 src1_sel:DWORD
	s_waitcnt lgkmcnt(4)
	v_lshrrev_b32_e32 v170, 16, v107
	v_fmac_f16_e32 v182, v0, v69
	v_fma_f16 v69, v0, v90, -v183
	v_mul_f16_sdwa v90, v1, v111 dst_sel:DWORD dst_unused:UNUSED_PAD src0_sel:WORD_1 src1_sel:DWORD
	v_fmac_f16_e32 v185, v1, v111
	v_mul_f16_sdwa v111, v2, v143 dst_sel:DWORD dst_unused:UNUSED_PAD src0_sel:WORD_1 src1_sel:DWORD
	v_mul_f16_sdwa v183, v2, v102 dst_sel:DWORD dst_unused:UNUSED_PAD src0_sel:WORD_1 src1_sel:DWORD
	s_waitcnt lgkmcnt(3)
	v_lshrrev_b32_e32 v172, 16, v105
	v_fma_f16 v90, v1, v142, -v90
	v_mul_f16_sdwa v142, v3, v109 dst_sel:DWORD dst_unused:UNUSED_PAD src0_sel:WORD_1 src1_sel:DWORD
	v_fmac_f16_e32 v111, v2, v102
	v_fma_f16 v102, v2, v143, -v183
	v_fmac_f16_e32 v187, v3, v109
	v_mul_f16_sdwa v109, v87, v145 dst_sel:DWORD dst_unused:UNUSED_PAD src0_sel:WORD_1 src1_sel:DWORD
	v_mul_f16_sdwa v143, v87, v100 dst_sel:DWORD dst_unused:UNUSED_PAD src0_sel:WORD_1 src1_sel:DWORD
	v_lshrrev_b32_e32 v173, 16, v112
	s_waitcnt lgkmcnt(2)
	v_lshrrev_b32_e32 v174, 16, v103
	v_fma_f16 v142, v3, v144, -v142
	v_mul_f16_sdwa v144, v88, v170 dst_sel:DWORD dst_unused:UNUSED_PAD src0_sel:WORD_1 src1_sel:DWORD
	v_mul_f16_sdwa v183, v88, v107 dst_sel:DWORD dst_unused:UNUSED_PAD src0_sel:WORD_1 src1_sel:DWORD
	v_fmac_f16_e32 v109, v87, v100
	v_mul_f16_sdwa v100, v0, v172 dst_sel:DWORD dst_unused:UNUSED_PAD src0_sel:WORD_1 src1_sel:DWORD
	v_fma_f16 v143, v87, v145, -v143
	v_mul_f16_sdwa v145, v0, v105 dst_sel:DWORD dst_unused:UNUSED_PAD src0_sel:WORD_1 src1_sel:DWORD
	v_lshrrev_b32_e32 v175, 16, v110
	s_waitcnt lgkmcnt(1)
	v_lshrrev_b32_e32 v176, 16, v97
	v_fmac_f16_e32 v144, v88, v107
	v_fma_f16 v107, v88, v170, -v183
	v_fmac_f16_e32 v100, v0, v105
	v_mul_f16_sdwa v105, v1, v173 dst_sel:DWORD dst_unused:UNUSED_PAD src0_sel:WORD_1 src1_sel:DWORD
	v_mul_f16_sdwa v170, v1, v112 dst_sel:DWORD dst_unused:UNUSED_PAD src0_sel:WORD_1 src1_sel:DWORD
	;; [unrolled: 1-line block ×3, first 2 shown]
	v_fma_f16 v145, v0, v172, -v145
	v_mul_f16_sdwa v172, v2, v103 dst_sel:DWORD dst_unused:UNUSED_PAD src0_sel:WORD_1 src1_sel:DWORD
	v_lshrrev_b32_e32 v177, 16, v108
	v_fmac_f16_e32 v105, v1, v112
	v_fma_f16 v112, v1, v173, -v170
	v_fmac_f16_e32 v183, v2, v103
	v_mul_f16_sdwa v103, v3, v175 dst_sel:DWORD dst_unused:UNUSED_PAD src0_sel:WORD_1 src1_sel:DWORD
	v_fma_f16 v170, v2, v174, -v172
	v_mul_f16_sdwa v173, v87, v176 dst_sel:DWORD dst_unused:UNUSED_PAD src0_sel:WORD_1 src1_sel:DWORD
	v_mul_f16_sdwa v174, v87, v97 dst_sel:DWORD dst_unused:UNUSED_PAD src0_sel:WORD_1 src1_sel:DWORD
	v_lshrrev_b32_e32 v178, 16, v106
	v_mul_f16_sdwa v172, v3, v110 dst_sel:DWORD dst_unused:UNUSED_PAD src0_sel:WORD_1 src1_sel:DWORD
	v_fmac_f16_e32 v103, v3, v110
	v_mul_f16_sdwa v110, v88, v177 dst_sel:DWORD dst_unused:UNUSED_PAD src0_sel:WORD_1 src1_sel:DWORD
	v_fmac_f16_e32 v173, v87, v97
	v_fma_f16 v97, v87, v176, -v174
	v_mul_f16_sdwa v174, v88, v108 dst_sel:DWORD dst_unused:UNUSED_PAD src0_sel:WORD_1 src1_sel:DWORD
	v_lshrrev_b32_e32 v179, 16, v101
	v_lshrrev_b32_e32 v181, 16, v99
	v_fma_f16 v172, v3, v175, -v172
	v_fmac_f16_e32 v110, v88, v108
	v_mul_f16_sdwa v108, v0, v178 dst_sel:DWORD dst_unused:UNUSED_PAD src0_sel:WORD_1 src1_sel:DWORD
	v_mul_f16_sdwa v175, v0, v106 dst_sel:DWORD dst_unused:UNUSED_PAD src0_sel:WORD_1 src1_sel:DWORD
	v_fma_f16 v174, v88, v177, -v174
	v_mul_f16_sdwa v177, v1, v101 dst_sel:DWORD dst_unused:UNUSED_PAD src0_sel:WORD_1 src1_sel:DWORD
	v_lshrrev_b32_e32 v180, 16, v104
	v_mul_f16_sdwa v176, v1, v179 dst_sel:DWORD dst_unused:UNUSED_PAD src0_sel:WORD_1 src1_sel:DWORD
	v_fmac_f16_e32 v108, v0, v106
	v_fma_f16 v106, v0, v178, -v175
	v_fma_f16 v175, v1, v179, -v177
	v_mul_f16_sdwa v178, v3, v181 dst_sel:DWORD dst_unused:UNUSED_PAD src0_sel:WORD_1 src1_sel:DWORD
	v_mul_f16_sdwa v179, v3, v99 dst_sel:DWORD dst_unused:UNUSED_PAD src0_sel:WORD_1 src1_sel:DWORD
	v_lshrrev_b32_e32 v184, 16, v98
	s_waitcnt lgkmcnt(0)
	v_lshrrev_b32_e32 v186, 16, v71
	v_fmac_f16_e32 v176, v1, v101
	v_mul_f16_sdwa v101, v2, v180 dst_sel:DWORD dst_unused:UNUSED_PAD src0_sel:WORD_1 src1_sel:DWORD
	v_mul_f16_sdwa v177, v2, v104 dst_sel:DWORD dst_unused:UNUSED_PAD src0_sel:WORD_1 src1_sel:DWORD
	v_fmac_f16_e32 v178, v3, v99
	v_fma_f16 v99, v3, v181, -v179
	v_lshrrev_b32_e32 v179, 16, v70
	v_fmac_f16_e32 v101, v2, v104
	v_mul_f16_sdwa v104, v87, v184 dst_sel:DWORD dst_unused:UNUSED_PAD src0_sel:WORD_1 src1_sel:DWORD
	v_fma_f16 v177, v2, v180, -v177
	v_mul_f16_sdwa v180, v88, v186 dst_sel:DWORD dst_unused:UNUSED_PAD src0_sel:WORD_1 src1_sel:DWORD
	v_mul_f16_sdwa v181, v88, v71 dst_sel:DWORD dst_unused:UNUSED_PAD src0_sel:WORD_1 src1_sel:DWORD
	;; [unrolled: 1-line block ×3, first 2 shown]
	v_fmac_f16_e32 v104, v87, v98
	v_mul_f16_sdwa v98, v87, v98 dst_sel:DWORD dst_unused:UNUSED_PAD src0_sel:WORD_1 src1_sel:DWORD
	v_mul_f16_sdwa v189, v0, v70 dst_sel:DWORD dst_unused:UNUSED_PAD src0_sel:WORD_1 src1_sel:DWORD
	v_fmac_f16_e32 v180, v88, v71
	v_fma_f16 v71, v88, v186, -v181
	v_fmac_f16_e32 v188, v0, v70
	v_mul_f16_sdwa v70, v1, v171 dst_sel:DWORD dst_unused:UNUSED_PAD src0_sel:WORD_1 src1_sel:DWORD
	v_mul_f16_sdwa v181, v2, v169 dst_sel:DWORD dst_unused:UNUSED_PAD src0_sel:WORD_1 src1_sel:DWORD
	;; [unrolled: 1-line block ×3, first 2 shown]
	v_fma_f16 v98, v87, v184, -v98
	v_fma_f16 v0, v0, v179, -v189
	v_mul_f16_sdwa v179, v1, v93 dst_sel:DWORD dst_unused:UNUSED_PAD src0_sel:WORD_1 src1_sel:DWORD
	v_mul_f16_sdwa v184, v2, v94 dst_sel:DWORD dst_unused:UNUSED_PAD src0_sel:WORD_1 src1_sel:DWORD
	v_fmac_f16_e32 v70, v1, v93
	v_fmac_f16_e32 v181, v2, v94
	;; [unrolled: 1-line block ×3, first 2 shown]
	v_mul_f16_sdwa v93, v3, v95 dst_sel:DWORD dst_unused:UNUSED_PAD src0_sel:WORD_1 src1_sel:DWORD
	v_mul_f16_sdwa v94, v87, v166 dst_sel:DWORD dst_unused:UNUSED_PAD src0_sel:WORD_1 src1_sel:DWORD
	;; [unrolled: 1-line block ×3, first 2 shown]
	v_fma_f16 v2, v2, v169, -v184
	v_mul_f16_sdwa v169, v88, v167 dst_sel:DWORD dst_unused:UNUSED_PAD src0_sel:WORD_1 src1_sel:DWORD
	v_fma_f16 v3, v3, v168, -v93
	v_fmac_f16_e32 v94, v87, v96
	v_fma_f16 v87, v87, v166, -v95
	v_add_f16_e32 v93, v182, v144
	v_add_f16_e32 v95, v69, v107
	v_sub_f16_e32 v96, v182, v144
	v_sub_f16_e32 v69, v69, v107
	v_add_f16_e32 v107, v185, v109
	v_add_f16_e32 v144, v90, v143
	v_fma_f16 v1, v1, v171, -v179
	v_mul_f16_sdwa v171, v88, v165 dst_sel:DWORD dst_unused:UNUSED_PAD src0_sel:WORD_1 src1_sel:DWORD
	v_fmac_f16_e32 v169, v88, v165
	v_sub_f16_e32 v109, v185, v109
	v_sub_f16_e32 v90, v90, v143
	v_add_f16_e32 v143, v111, v187
	v_add_f16_e32 v165, v102, v142
	v_sub_f16_e32 v111, v187, v111
	v_sub_f16_e32 v102, v142, v102
	v_add_f16_e32 v142, v107, v93
	v_add_f16_e32 v166, v144, v95
	v_fma_f16 v88, v88, v167, -v171
	v_sub_f16_e32 v167, v107, v93
	v_sub_f16_e32 v168, v144, v95
	;; [unrolled: 1-line block ×5, first 2 shown]
	v_add_f16_e32 v179, v102, v90
	v_sub_f16_e32 v182, v111, v109
	v_sub_f16_e32 v184, v102, v90
	v_add_f16_e32 v142, v143, v142
	v_add_f16_e32 v143, v165, v166
	v_sub_f16_e32 v144, v165, v144
	v_add_f16_e32 v171, v111, v109
	v_sub_f16_e32 v102, v69, v102
	v_sub_f16_e32 v109, v109, v96
	;; [unrolled: 1-line block ×3, first 2 shown]
	v_add_f16_e32 v69, v179, v69
	v_add_f16_e32 v165, v91, v142
	v_add_f16_sdwa v166, v91, v143 dst_sel:DWORD dst_unused:UNUSED_PAD src0_sel:WORD_1 src1_sel:DWORD
	v_mul_f16_e32 v91, 0x3a52, v93
	v_mul_f16_e32 v93, 0x3a52, v95
	;; [unrolled: 1-line block ×5, first 2 shown]
	v_sub_f16_e32 v111, v96, v111
	v_add_f16_e32 v96, v171, v96
	v_mul_f16_e32 v171, 0x2b26, v144
	v_mul_f16_e32 v184, 0xbb00, v109
	;; [unrolled: 1-line block ×3, first 2 shown]
	v_fmamk_f16 v142, v142, 0xbcab, v165
	v_fma_f16 v95, v167, 0x39e0, -v95
	v_fma_f16 v90, v90, 0xbb00, -v182
	v_fmamk_f16 v143, v143, 0xbcab, v166
	v_fmamk_f16 v107, v107, 0x2b26, v91
	v_fmamk_f16 v144, v144, 0x2b26, v93
	v_fma_f16 v171, v168, 0x39e0, -v171
	v_fma_f16 v91, v167, 0xb9e0, -v91
	;; [unrolled: 1-line block ×3, first 2 shown]
	v_fmamk_f16 v167, v111, 0xb574, v179
	v_fmamk_f16 v168, v102, 0xb574, v182
	v_fma_f16 v109, v109, 0xbb00, -v179
	v_fma_f16 v111, v111, 0x3574, -v184
	;; [unrolled: 1-line block ×3, first 2 shown]
	v_add_f16_e32 v95, v95, v142
	v_fmac_f16_e32 v90, 0xb70e, v69
	v_add_f16_e32 v144, v144, v143
	v_add_f16_e32 v91, v91, v142
	;; [unrolled: 1-line block ×3, first 2 shown]
	v_fmac_f16_e32 v167, 0xb70e, v96
	v_fmac_f16_e32 v168, 0xb70e, v69
	;; [unrolled: 1-line block ×5, first 2 shown]
	v_sub_f16_e32 v184, v95, v90
	v_add_f16_e32 v187, v90, v95
	v_add_f16_e32 v69, v100, v110
	;; [unrolled: 1-line block ×7, first 2 shown]
	v_sub_f16_e32 v143, v144, v167
	v_add_f16_e32 v179, v102, v91
	v_sub_f16_e32 v182, v93, v111
	v_sub_f16_e32 v102, v91, v102
	v_add_f16_e32 v111, v111, v93
	v_add_f16_e32 v144, v167, v144
	v_sub_f16_e32 v91, v100, v110
	v_sub_f16_e32 v93, v145, v174
	;; [unrolled: 1-line block ×4, first 2 shown]
	v_add_f16_e32 v105, v183, v103
	v_add_f16_e32 v110, v170, v172
	v_sub_f16_e32 v103, v103, v183
	v_sub_f16_e32 v112, v172, v170
	v_add_f16_e32 v145, v95, v69
	v_add_f16_e32 v167, v96, v90
	;; [unrolled: 1-line block ×4, first 2 shown]
	v_sub_f16_e32 v109, v171, v109
	v_sub_f16_e32 v107, v107, v168
	;; [unrolled: 1-line block ×8, first 2 shown]
	v_add_f16_e32 v171, v103, v100
	v_add_f16_e32 v172, v112, v97
	v_sub_f16_e32 v173, v103, v100
	v_sub_f16_e32 v174, v112, v97
	;; [unrolled: 1-line block ×3, first 2 shown]
	v_add_f16_e32 v105, v105, v145
	v_add_f16_e32 v110, v110, v167
	v_sub_f16_e32 v97, v97, v93
	v_sub_f16_e32 v103, v91, v103
	;; [unrolled: 1-line block ×3, first 2 shown]
	v_add_f16_e32 v91, v171, v91
	v_add_f16_e32 v93, v172, v93
	;; [unrolled: 1-line block ×3, first 2 shown]
	v_add_f16_sdwa v167, v92, v110 dst_sel:DWORD dst_unused:UNUSED_PAD src0_sel:WORD_1 src1_sel:DWORD
	v_mul_f16_e32 v69, 0x3a52, v69
	v_mul_f16_e32 v90, 0x3a52, v90
	;; [unrolled: 1-line block ×8, first 2 shown]
	v_fmamk_f16 v105, v105, 0xbcab, v145
	v_fmamk_f16 v110, v110, 0xbcab, v167
	;; [unrolled: 1-line block ×4, first 2 shown]
	v_fma_f16 v92, v168, 0x39e0, -v92
	v_fma_f16 v171, v170, 0x39e0, -v171
	;; [unrolled: 1-line block ×4, first 2 shown]
	v_fmamk_f16 v168, v103, 0xb574, v172
	v_fmamk_f16 v170, v112, 0xb574, v173
	v_fma_f16 v97, v97, 0xbb00, -v173
	v_fma_f16 v103, v103, 0x3574, -v174
	;; [unrolled: 1-line block ×3, first 2 shown]
	v_add_f16_e32 v92, v92, v105
	v_add_f16_e32 v69, v69, v105
	v_add_f16_e32 v90, v90, v110
	v_fmac_f16_e32 v103, 0xb70e, v91
	v_fmac_f16_e32 v112, 0xb70e, v93
	;; [unrolled: 1-line block ×3, first 2 shown]
	v_fma_f16 v100, v100, 0xbb00, -v172
	v_add_f16_e32 v95, v95, v105
	v_add_f16_e32 v96, v96, v110
	v_fmac_f16_e32 v168, 0xb70e, v91
	v_fmac_f16_e32 v170, 0xb70e, v93
	v_add_f16_e32 v172, v112, v69
	v_sub_f16_e32 v173, v90, v103
	v_sub_f16_e32 v174, v92, v97
	v_add_f16_e32 v189, v97, v92
	v_sub_f16_e32 v112, v69, v112
	v_add_f16_e32 v103, v103, v90
	v_add_f16_e32 v69, v108, v180
	;; [unrolled: 1-line block ×6, first 2 shown]
	v_fmac_f16_e32 v100, 0xb70e, v91
	v_add_f16_e32 v105, v170, v95
	v_sub_f16_e32 v110, v96, v168
	v_sub_f16_e32 v170, v95, v170
	v_add_f16_e32 v168, v168, v96
	v_sub_f16_e32 v91, v108, v180
	v_sub_f16_e32 v71, v106, v71
	;; [unrolled: 1-line block ×4, first 2 shown]
	v_add_f16_e32 v97, v101, v178
	v_add_f16_e32 v98, v177, v99
	v_sub_f16_e32 v101, v178, v101
	v_sub_f16_e32 v99, v99, v177
	v_add_f16_e32 v104, v92, v69
	v_add_f16_e32 v106, v93, v90
	;; [unrolled: 1-line block ×3, first 2 shown]
	v_sub_f16_e32 v100, v171, v100
	v_sub_f16_e32 v108, v92, v69
	;; [unrolled: 1-line block ×7, first 2 shown]
	v_add_f16_e32 v175, v101, v95
	v_add_f16_e32 v176, v99, v96
	v_sub_f16_e32 v177, v101, v95
	v_sub_f16_e32 v178, v99, v96
	;; [unrolled: 1-line block ×3, first 2 shown]
	v_add_f16_e32 v97, v97, v104
	v_add_f16_e32 v98, v98, v106
	v_sub_f16_e32 v96, v96, v71
	v_sub_f16_e32 v101, v91, v101
	v_sub_f16_e32 v99, v71, v99
	v_add_f16_e32 v71, v176, v71
	v_add_f16_e32 v104, v68, v97
	v_add_f16_sdwa v106, v68, v98 dst_sel:DWORD dst_unused:UNUSED_PAD src0_sel:WORD_1 src1_sel:DWORD
	v_mul_f16_e32 v68, 0x3a52, v69
	v_mul_f16_e32 v69, 0x3a52, v90
	;; [unrolled: 1-line block ×6, first 2 shown]
	v_add_f16_e32 v91, v175, v91
	v_mul_f16_e32 v175, 0x2b26, v93
	v_mul_f16_e32 v180, 0xbb00, v96
	v_fmamk_f16 v97, v97, 0xbcab, v104
	v_fmamk_f16 v98, v98, 0xbcab, v106
	v_fmamk_f16 v92, v92, 0x2b26, v68
	v_fmamk_f16 v93, v93, 0x2b26, v69
	v_fma_f16 v90, v108, 0x39e0, -v90
	v_fma_f16 v68, v108, 0xb9e0, -v68
	;; [unrolled: 1-line block ×3, first 2 shown]
	v_fmamk_f16 v108, v101, 0xb574, v176
	v_fma_f16 v96, v96, 0xbb00, -v177
	v_fma_f16 v101, v101, 0x3574, -v178
	;; [unrolled: 1-line block ×3, first 2 shown]
	v_fmamk_f16 v171, v99, 0xb574, v177
	v_fma_f16 v99, v99, 0x3574, -v180
	v_add_f16_e32 v90, v90, v97
	v_add_f16_e32 v69, v69, v98
	v_fmac_f16_e32 v101, 0xb70e, v91
	v_fmac_f16_e32 v96, 0xb70e, v71
	v_add_f16_e32 v68, v68, v97
	v_fmac_f16_e32 v99, 0xb70e, v71
	v_fma_f16 v95, v95, 0xbb00, -v176
	v_add_f16_e32 v92, v92, v97
	v_add_f16_e32 v93, v93, v98
	v_fmac_f16_e32 v108, 0xb70e, v91
	v_fmac_f16_e32 v171, 0xb70e, v71
	v_sub_f16_e32 v180, v69, v101
	v_sub_f16_e32 v190, v90, v96
	v_add_f16_e32 v192, v96, v90
	v_add_f16_e32 v101, v101, v69
	v_add_f16_e32 v69, v88, v0
	v_add_f16_e32 v90, v87, v1
	v_add_f16_e32 v178, v99, v68
	v_sub_f16_e32 v99, v68, v99
	v_add_f16_e32 v68, v169, v188
	v_sub_f16_e32 v0, v0, v88
	v_add_f16_e32 v88, v94, v70
	v_add_f16_e32 v175, v175, v98
	v_fmac_f16_e32 v95, 0xb70e, v91
	v_add_f16_e32 v176, v171, v92
	v_sub_f16_e32 v177, v93, v108
	v_sub_f16_e32 v171, v92, v171
	v_add_f16_e32 v108, v108, v93
	v_sub_f16_e32 v71, v188, v169
	v_sub_f16_e32 v70, v70, v94
	;; [unrolled: 1-line block ×3, first 2 shown]
	v_add_f16_e32 v91, v3, v2
	v_sub_f16_e32 v92, v186, v181
	v_sub_f16_e32 v2, v3, v2
	v_add_f16_e32 v93, v90, v69
	v_add_f16_e32 v87, v186, v181
	;; [unrolled: 1-line block ×4, first 2 shown]
	v_sub_f16_e32 v175, v175, v95
	v_sub_f16_e32 v95, v90, v69
	v_sub_f16_e32 v90, v91, v90
	v_add_f16_e32 v96, v92, v70
	v_add_f16_e32 v97, v2, v1
	v_sub_f16_e32 v98, v92, v70
	v_sub_f16_e32 v169, v2, v1
	;; [unrolled: 1-line block ×4, first 2 shown]
	v_add_f16_e32 v70, v91, v93
	v_sub_f16_e32 v94, v88, v68
	v_sub_f16_e32 v68, v68, v87
	;; [unrolled: 1-line block ×4, first 2 shown]
	v_add_f16_e32 v3, v87, v3
	v_sub_f16_e32 v87, v1, v0
	v_add_f16_e32 v1, v164, v70
	v_mul_f16_e32 v91, 0x2b26, v90
	v_sub_f16_e32 v181, v71, v92
	v_add_f16_e32 v71, v96, v71
	v_add_f16_e32 v188, v97, v0
	;; [unrolled: 1-line block ×3, first 2 shown]
	v_mul_f16_e32 v68, 0x3a52, v68
	v_mul_f16_e32 v69, 0x3a52, v69
	;; [unrolled: 1-line block ×7, first 2 shown]
	v_fmamk_f16 v70, v70, 0xbcab, v1
	v_fma_f16 v164, v95, 0x39e0, -v91
	v_fmamk_f16 v98, v3, 0xbcab, v0
	v_fmamk_f16 v88, v88, 0x2b26, v68
	;; [unrolled: 1-line block ×3, first 2 shown]
	v_fma_f16 v89, v94, 0x39e0, -v89
	v_fma_f16 v169, v94, 0xb9e0, -v68
	v_fma_f16 v193, v95, 0xb9e0, -v69
	v_fmamk_f16 v3, v181, 0xb574, v92
	v_fmamk_f16 v68, v186, 0xb574, v93
	v_fma_f16 v92, v2, 0xbb00, -v92
	v_fma_f16 v2, v87, 0xbb00, -v93
	;; [unrolled: 1-line block ×4, first 2 shown]
	v_add_f16_e32 v97, v164, v70
	v_pack_b32_f16 v164, v165, v166
	v_pack_b32_f16 v142, v142, v143
	;; [unrolled: 1-line block ×4, first 2 shown]
	v_add_f16_e32 v93, v88, v98
	v_add_f16_e32 v95, v90, v70
	;; [unrolled: 1-line block ×5, first 2 shown]
	v_fmac_f16_e32 v3, 0xb70e, v71
	v_fmac_f16_e32 v2, 0xb70e, v188
	;; [unrolled: 1-line block ×6, first 2 shown]
	v_pack_b32_f16 v109, v187, v109
	v_pack_b32_f16 v102, v102, v111
	;; [unrolled: 1-line block ×5, first 2 shown]
	s_barrier
	buffer_gl0_inv
	ds_write2_b32 v146, v164, v142 offset1:4
	ds_write2_b32 v146, v143, v165 offset0:8 offset1:12
	v_pack_b32_f16 v110, v172, v173
	v_pack_b32_f16 v142, v174, v183
	;; [unrolled: 1-line block ×4, first 2 shown]
	v_add_f16_e32 v70, v2, v91
	v_sub_f16_e32 v87, v97, v92
	v_sub_f16_e32 v89, v96, v69
	v_add_f16_e32 v90, v94, v98
	v_sub_f16_e32 v71, v93, v68
	v_add_f16_e32 v88, v3, v95
	ds_write2_b32 v146, v109, v102 offset0:16 offset1:20
	ds_write_b32 v146, v107 offset:96
	ds_write2_b32 v147, v111, v105 offset1:4
	ds_write2_b32 v147, v110, v142 offset0:8 offset1:12
	ds_write2_b32 v147, v100, v103 offset0:16 offset1:20
	v_pack_b32_f16 v100, v170, v168
	v_pack_b32_f16 v102, v104, v106
	;; [unrolled: 1-line block ×8, first 2 shown]
	ds_write_b32 v147, v100 offset:96
	ds_write2_b32 v149, v102, v103 offset1:4
	ds_write2_b32 v149, v104, v105 offset0:8 offset1:12
	ds_write2_b32 v149, v106, v99 offset0:16 offset1:20
	ds_write_b32 v149, v101 offset:96
	s_and_saveexec_b32 s2, s0
	s_cbranch_execz .LBB0_25
; %bb.24:
	v_mul_u32_u24_e32 v99, 28, v148
	v_sub_f16_e32 v3, v95, v3
	v_add_f16_e32 v68, v68, v93
	v_add_f16_e32 v92, v92, v97
	v_sub_f16_e32 v94, v98, v94
	v_or_b32_e32 v93, v99, v139
	v_add_f16_e32 v69, v69, v96
	v_sub_f16_e32 v2, v91, v2
	v_perm_b32 v0, v1, v0, 0x5040100
	v_pack_b32_f16 v1, v68, v3
	v_lshlrev_b32_e32 v3, 2, v93
	v_pack_b32_f16 v68, v69, v94
	v_pack_b32_f16 v2, v2, v92
	v_perm_b32 v69, v87, v70, 0x5040100
	v_perm_b32 v91, v90, v89, 0x5040100
	;; [unrolled: 1-line block ×3, first 2 shown]
	ds_write2_b32 v3, v0, v1 offset1:4
	ds_write2_b32 v3, v68, v2 offset0:8 offset1:12
	ds_write2_b32 v3, v69, v91 offset0:16 offset1:20
	ds_write_b32 v3, v92 offset:96
.LBB0_25:
	s_or_b32 exec_lo, exec_lo, s2
	s_waitcnt lgkmcnt(0)
	s_barrier
	buffer_gl0_inv
	ds_read2st64_b32 v[68:69], v113 offset1:7
	ds_read2st64_b32 v[0:1], v113 offset0:28 offset1:35
	ds_read2st64_b32 v[96:97], v113 offset0:70 offset1:77
	;; [unrolled: 1-line block ×11, first 2 shown]
	ds_read_b32 v146, v113 offset:43008
	s_waitcnt lgkmcnt(0)
	s_barrier
	buffer_gl0_inv
	v_lshrrev_b32_e32 v95, 16, v68
	v_lshrrev_b32_e32 v112, 16, v1
	;; [unrolled: 1-line block ×4, first 2 shown]
	v_mul_f16_sdwa v179, v33, v96 dst_sel:DWORD dst_unused:UNUSED_PAD src0_sel:WORD_1 src1_sel:DWORD
	v_lshrrev_b32_e32 v147, 16, v102
	v_mul_f16_sdwa v173, v32, v112 dst_sel:DWORD dst_unused:UNUSED_PAD src0_sel:WORD_1 src1_sel:DWORD
	v_mul_f16_sdwa v178, v33, v139 dst_sel:DWORD dst_unused:UNUSED_PAD src0_sel:WORD_1 src1_sel:DWORD
	v_lshrrev_b32_e32 v145, 16, v100
	v_lshrrev_b32_e32 v148, 16, v97
	v_mul_f16_sdwa v180, v34, v144 dst_sel:DWORD dst_unused:UNUSED_PAD src0_sel:WORD_1 src1_sel:DWORD
	v_fmac_f16_e32 v173, v32, v1
	v_mul_f16_sdwa v1, v32, v1 dst_sel:DWORD dst_unused:UNUSED_PAD src0_sel:WORD_1 src1_sel:DWORD
	v_mul_f16_sdwa v181, v34, v99 dst_sel:DWORD dst_unused:UNUSED_PAD src0_sel:WORD_1 src1_sel:DWORD
	v_fmac_f16_e32 v178, v33, v96
	v_fma_f16 v96, v33, v139, -v179
	v_mul_f16_sdwa v139, v28, v147 dst_sel:DWORD dst_unused:UNUSED_PAD src0_sel:WORD_1 src1_sel:DWORD
	v_mul_f16_sdwa v33, v28, v102 dst_sel:DWORD dst_unused:UNUSED_PAD src0_sel:WORD_1 src1_sel:DWORD
	v_lshrrev_b32_e32 v149, 16, v104
	v_lshrrev_b32_e32 v164, 16, v101
	;; [unrolled: 1-line block ×3, first 2 shown]
	v_fma_f16 v1, v32, v112, -v1
	v_fmac_f16_e32 v180, v34, v99
	v_fma_f16 v99, v34, v144, -v181
	v_mul_f16_sdwa v112, v35, v145 dst_sel:DWORD dst_unused:UNUSED_PAD src0_sel:WORD_1 src1_sel:DWORD
	v_mul_f16_sdwa v32, v35, v100 dst_sel:DWORD dst_unused:UNUSED_PAD src0_sel:WORD_1 src1_sel:DWORD
	;; [unrolled: 1-line block ×3, first 2 shown]
	v_fmac_f16_e32 v139, v28, v102
	v_fma_f16 v102, v28, v147, -v33
	v_mul_f16_sdwa v28, v29, v97 dst_sel:DWORD dst_unused:UNUSED_PAD src0_sel:WORD_1 src1_sel:DWORD
	v_lshrrev_b32_e32 v166, 16, v106
	v_lshrrev_b32_e32 v167, 16, v105
	v_lshrrev_b32_e32 v169, 16, v110
	v_fmac_f16_e32 v112, v35, v100
	v_fma_f16 v100, v35, v145, -v32
	v_fmac_f16_e32 v144, v29, v97
	v_mul_f16_sdwa v97, v30, v149 dst_sel:DWORD dst_unused:UNUSED_PAD src0_sel:WORD_1 src1_sel:DWORD
	v_mul_f16_sdwa v32, v30, v104 dst_sel:DWORD dst_unused:UNUSED_PAD src0_sel:WORD_1 src1_sel:DWORD
	;; [unrolled: 1-line block ×4, first 2 shown]
	v_fma_f16 v147, v29, v148, -v28
	v_mul_f16_sdwa v148, v24, v165 dst_sel:DWORD dst_unused:UNUSED_PAD src0_sel:WORD_1 src1_sel:DWORD
	v_mul_f16_sdwa v28, v24, v103 dst_sel:DWORD dst_unused:UNUSED_PAD src0_sel:WORD_1 src1_sel:DWORD
	v_lshrrev_b32_e32 v168, 16, v108
	v_lshrrev_b32_e32 v170, 16, v107
	v_fmac_f16_e32 v97, v30, v104
	v_fma_f16 v104, v30, v149, -v32
	v_fmac_f16_e32 v145, v31, v101
	v_fma_f16 v101, v31, v164, -v33
	v_mul_f16_sdwa v149, v25, v166 dst_sel:DWORD dst_unused:UNUSED_PAD src0_sel:WORD_1 src1_sel:DWORD
	v_mul_f16_sdwa v29, v25, v106 dst_sel:DWORD dst_unused:UNUSED_PAD src0_sel:WORD_1 src1_sel:DWORD
	;; [unrolled: 1-line block ×3, first 2 shown]
	v_fmac_f16_e32 v148, v24, v103
	v_fma_f16 v103, v24, v165, -v28
	v_mul_f16_sdwa v165, v20, v169 dst_sel:DWORD dst_unused:UNUSED_PAD src0_sel:WORD_1 src1_sel:DWORD
	v_mul_f16_sdwa v28, v20, v110 dst_sel:DWORD dst_unused:UNUSED_PAD src0_sel:WORD_1 src1_sel:DWORD
	v_lshrrev_b32_e32 v171, 16, v142
	v_lshrrev_b32_e32 v172, 16, v109
	;; [unrolled: 1-line block ×3, first 2 shown]
	v_fmac_f16_e32 v149, v25, v106
	v_fma_f16 v106, v25, v166, -v29
	v_fmac_f16_e32 v164, v26, v105
	v_mul_f16_sdwa v24, v26, v105 dst_sel:DWORD dst_unused:UNUSED_PAD src0_sel:WORD_1 src1_sel:DWORD
	v_mul_f16_sdwa v105, v27, v168 dst_sel:DWORD dst_unused:UNUSED_PAD src0_sel:WORD_1 src1_sel:DWORD
	;; [unrolled: 1-line block ×3, first 2 shown]
	v_fmac_f16_e32 v165, v20, v110
	v_fma_f16 v110, v20, v169, -v28
	v_mul_f16_sdwa v166, v21, v170 dst_sel:DWORD dst_unused:UNUSED_PAD src0_sel:WORD_1 src1_sel:DWORD
	v_mul_f16_sdwa v20, v21, v107 dst_sel:DWORD dst_unused:UNUSED_PAD src0_sel:WORD_1 src1_sel:DWORD
	v_lshrrev_b32_e32 v174, 16, v111
	v_fma_f16 v26, v26, v167, -v24
	v_fmac_f16_e32 v105, v27, v108
	v_fma_f16 v108, v27, v168, -v25
	v_mul_f16_sdwa v167, v22, v171 dst_sel:DWORD dst_unused:UNUSED_PAD src0_sel:WORD_1 src1_sel:DWORD
	v_mul_f16_sdwa v24, v22, v142 dst_sel:DWORD dst_unused:UNUSED_PAD src0_sel:WORD_1 src1_sel:DWORD
	;; [unrolled: 1-line block ×3, first 2 shown]
	v_fmac_f16_e32 v166, v21, v107
	v_fma_f16 v21, v21, v170, -v20
	v_mul_f16_sdwa v20, v23, v109 dst_sel:DWORD dst_unused:UNUSED_PAD src0_sel:WORD_1 src1_sel:DWORD
	v_mul_f16_sdwa v27, v17, v175 dst_sel:DWORD dst_unused:UNUSED_PAD src0_sel:WORD_1 src1_sel:DWORD
	;; [unrolled: 1-line block ×3, first 2 shown]
	v_lshrrev_b32_e32 v176, 16, v143
	v_fmac_f16_e32 v167, v22, v142
	v_fma_f16 v107, v22, v171, -v24
	v_fmac_f16_e32 v168, v23, v109
	v_mul_f16_sdwa v24, v16, v174 dst_sel:DWORD dst_unused:UNUSED_PAD src0_sel:WORD_1 src1_sel:DWORD
	v_mul_f16_sdwa v22, v16, v111 dst_sel:DWORD dst_unused:UNUSED_PAD src0_sel:WORD_1 src1_sel:DWORD
	v_fma_f16 v23, v23, v172, -v20
	v_fmac_f16_e32 v27, v17, v98
	v_fma_f16 v29, v17, v175, -v28
	v_mul_f16_sdwa v17, v18, v143 dst_sel:DWORD dst_unused:UNUSED_PAD src0_sel:WORD_1 src1_sel:DWORD
	v_add_f16_e32 v20, v68, v173
	v_lshrrev_b32_e32 v177, 16, v146
	v_fmac_f16_e32 v24, v16, v111
	v_fma_f16 v25, v16, v174, -v22
	v_add_f16_e32 v16, v178, v180
	v_mul_f16_sdwa v35, v18, v176 dst_sel:DWORD dst_unused:UNUSED_PAD src0_sel:WORD_1 src1_sel:DWORD
	v_fma_f16 v32, v18, v176, -v17
	v_add_f16_e32 v17, v20, v178
	v_add_f16_e32 v31, v173, v112
	v_mul_f16_sdwa v98, v19, v177 dst_sel:DWORD dst_unused:UNUSED_PAD src0_sel:WORD_1 src1_sel:DWORD
	v_fma_f16 v28, -0.5, v16, v68
	v_sub_f16_e32 v16, v1, v100
	v_fmac_f16_e32 v35, v18, v143
	v_sub_f16_e32 v18, v96, v99
	v_sub_f16_e32 v20, v173, v178
	;; [unrolled: 1-line block ×3, first 2 shown]
	v_mul_f16_sdwa v33, v19, v146 dst_sel:DWORD dst_unused:UNUSED_PAD src0_sel:WORD_1 src1_sel:DWORD
	v_add_f16_e32 v17, v17, v180
	v_fma_f16 v31, -0.5, v31, v68
	v_fmac_f16_e32 v98, v19, v146
	v_fmamk_f16 v30, v16, 0xbb9c, v28
	v_add_f16_e32 v20, v20, v22
	v_fma_f16 v68, v19, v177, -v33
	v_add_f16_e32 v33, v17, v112
	v_fmac_f16_e32 v28, 0x3b9c, v16
	v_fmamk_f16 v34, v18, 0x3b9c, v31
	v_sub_f16_e32 v17, v178, v173
	v_sub_f16_e32 v19, v180, v112
	v_add_f16_e32 v22, v95, v1
	v_add_f16_e32 v109, v96, v99
	v_fmac_f16_e32 v31, 0xbb9c, v18
	v_fmac_f16_e32 v30, 0xb8b4, v18
	;; [unrolled: 1-line block ×4, first 2 shown]
	v_add_f16_e32 v17, v17, v19
	v_add_f16_e32 v18, v22, v96
	v_fma_f16 v109, -0.5, v109, v95
	v_sub_f16_e32 v19, v173, v112
	v_fmac_f16_e32 v31, 0x38b4, v16
	v_fmac_f16_e32 v30, 0x34f2, v20
	;; [unrolled: 1-line block ×4, first 2 shown]
	v_add_f16_e32 v16, v18, v99
	v_fmamk_f16 v111, v19, 0x3b9c, v109
	v_add_f16_e32 v18, v1, v100
	v_sub_f16_e32 v20, v178, v180
	v_sub_f16_e32 v22, v1, v96
	;; [unrolled: 1-line block ×3, first 2 shown]
	v_fmac_f16_e32 v31, 0x34f2, v17
	v_fmac_f16_e32 v109, 0xbb9c, v19
	v_sub_f16_e32 v1, v96, v1
	v_sub_f16_e32 v17, v99, v100
	v_fmac_f16_e32 v95, -0.5, v18
	v_add_f16_e32 v142, v16, v100
	v_fmac_f16_e32 v111, 0x38b4, v20
	v_add_f16_e32 v16, v22, v112
	v_fmac_f16_e32 v109, 0xb8b4, v20
	v_add_f16_e32 v1, v1, v17
	v_add_f16_e32 v17, v69, v139
	v_fmamk_f16 v112, v20, 0xbb9c, v95
	v_fmac_f16_e32 v111, 0x34f2, v16
	v_fmac_f16_e32 v109, 0x34f2, v16
	;; [unrolled: 1-line block ×3, first 2 shown]
	v_add_f16_e32 v16, v17, v144
	v_lshrrev_b32_e32 v93, 16, v69
	v_add_f16_e32 v18, v144, v97
	v_fmac_f16_e32 v112, 0x38b4, v19
	v_sub_f16_e32 v20, v139, v144
	v_sub_f16_e32 v22, v145, v97
	v_add_f16_e32 v100, v139, v145
	v_fmac_f16_e32 v95, 0xb8b4, v19
	v_add_f16_e32 v16, v16, v97
	v_fma_f16 v96, -0.5, v18, v69
	v_sub_f16_e32 v18, v102, v101
	v_fmac_f16_e32 v112, 0x34f2, v1
	v_sub_f16_e32 v17, v147, v104
	v_add_f16_e32 v19, v20, v22
	v_fmac_f16_e32 v69, -0.5, v100
	v_fmac_f16_e32 v95, 0x34f2, v1
	v_add_f16_e32 v100, v16, v145
	v_sub_f16_e32 v1, v144, v139
	v_sub_f16_e32 v16, v97, v145
	v_add_f16_e32 v20, v93, v102
	v_fmamk_f16 v99, v18, 0xbb9c, v96
	v_fmac_f16_e32 v96, 0x3b9c, v18
	v_fmamk_f16 v143, v17, 0x3b9c, v69
	v_add_f16_e32 v22, v147, v104
	v_add_f16_e32 v1, v1, v16
	v_fmac_f16_e32 v69, 0xbb9c, v17
	v_add_f16_e32 v16, v20, v147
	v_fmac_f16_e32 v99, 0xb8b4, v17
	v_fmac_f16_e32 v96, 0x38b4, v17
	;; [unrolled: 1-line block ×3, first 2 shown]
	v_fma_f16 v146, -0.5, v22, v93
	v_sub_f16_e32 v17, v139, v145
	v_fmac_f16_e32 v69, 0x38b4, v18
	v_add_f16_e32 v16, v16, v104
	v_add_f16_e32 v18, v102, v101
	v_fmac_f16_e32 v99, 0x34f2, v19
	v_fmac_f16_e32 v96, 0x34f2, v19
	v_fmamk_f16 v139, v17, 0x3b9c, v146
	v_sub_f16_e32 v19, v144, v97
	v_sub_f16_e32 v20, v102, v147
	;; [unrolled: 1-line block ×3, first 2 shown]
	v_fmac_f16_e32 v93, -0.5, v18
	v_add_f16_e32 v97, v16, v101
	v_fmac_f16_e32 v146, 0xbb9c, v17
	v_sub_f16_e32 v16, v147, v102
	v_sub_f16_e32 v18, v104, v101
	v_fmac_f16_e32 v143, 0x34f2, v1
	v_fmac_f16_e32 v69, 0x34f2, v1
	;; [unrolled: 1-line block ×3, first 2 shown]
	v_add_f16_e32 v1, v20, v22
	v_add_f16_e32 v20, v149, v164
	v_fmac_f16_e32 v146, 0xb8b4, v19
	v_add_f16_e32 v16, v16, v18
	v_add_f16_e32 v18, v2, v148
	v_fmamk_f16 v144, v19, 0xbb9c, v93
	v_fmac_f16_e32 v139, 0x34f2, v1
	v_fma_f16 v101, -0.5, v20, v2
	v_sub_f16_e32 v20, v103, v108
	v_fmac_f16_e32 v146, 0x34f2, v1
	v_fmac_f16_e32 v93, 0x3b9c, v19
	v_add_f16_e32 v1, v18, v149
	v_lshrrev_b32_e32 v94, 16, v2
	v_fmac_f16_e32 v144, 0x38b4, v17
	v_fmamk_f16 v102, v20, 0xbb9c, v101
	v_sub_f16_e32 v18, v106, v26
	v_sub_f16_e32 v19, v148, v149
	;; [unrolled: 1-line block ×3, first 2 shown]
	v_add_f16_e32 v104, v148, v105
	v_fmac_f16_e32 v93, 0xb8b4, v17
	v_add_f16_e32 v1, v1, v164
	v_fmac_f16_e32 v101, 0x3b9c, v20
	v_fmac_f16_e32 v144, 0x34f2, v16
	;; [unrolled: 1-line block ×3, first 2 shown]
	v_add_f16_e32 v17, v19, v22
	v_fma_f16 v104, -0.5, v104, v2
	v_fmac_f16_e32 v93, 0x34f2, v16
	v_add_f16_e32 v145, v1, v105
	v_sub_f16_e32 v1, v149, v148
	v_sub_f16_e32 v2, v164, v105
	v_fmac_f16_e32 v101, 0x38b4, v18
	v_add_f16_e32 v16, v94, v103
	v_fmac_f16_e32 v102, 0x34f2, v17
	v_fmamk_f16 v147, v18, 0x3b9c, v104
	v_add_f16_e32 v19, v106, v26
	v_add_f16_e32 v1, v1, v2
	v_fmac_f16_e32 v104, 0xbb9c, v18
	v_add_f16_e32 v2, v16, v106
	v_fmac_f16_e32 v101, 0x34f2, v17
	;; [unrolled: 2-line block ×3, first 2 shown]
	v_fma_f16 v169, -0.5, v19, v94
	v_sub_f16_e32 v16, v148, v105
	v_fmac_f16_e32 v104, 0x38b4, v20
	v_add_f16_e32 v2, v2, v26
	v_sub_f16_e32 v18, v149, v164
	v_sub_f16_e32 v19, v103, v106
	;; [unrolled: 1-line block ×3, first 2 shown]
	v_fmac_f16_e32 v94, -0.5, v17
	v_fmac_f16_e32 v147, 0x34f2, v1
	v_fmamk_f16 v105, v16, 0x3b9c, v169
	v_fmac_f16_e32 v104, 0x34f2, v1
	v_add_f16_e32 v148, v2, v108
	v_add_f16_e32 v1, v19, v20
	v_fmac_f16_e32 v169, 0xbb9c, v16
	v_fmamk_f16 v149, v18, 0xbb9c, v94
	v_sub_f16_e32 v2, v106, v103
	v_sub_f16_e32 v17, v26, v108
	v_add_f16_e32 v19, v166, v167
	v_add_f16_e32 v20, v3, v165
	v_fmac_f16_e32 v94, 0x3b9c, v18
	v_lshrrev_b32_e32 v92, 16, v3
	v_fmac_f16_e32 v105, 0x38b4, v18
	v_fmac_f16_e32 v169, 0xb8b4, v18
	;; [unrolled: 1-line block ×3, first 2 shown]
	v_add_f16_e32 v17, v2, v17
	v_fma_f16 v2, -0.5, v19, v3
	v_sub_f16_e32 v19, v110, v23
	v_add_f16_e32 v18, v20, v166
	v_sub_f16_e32 v22, v165, v166
	v_sub_f16_e32 v26, v168, v167
	v_add_f16_e32 v103, v165, v168
	v_fmac_f16_e32 v94, 0xb8b4, v16
	v_fmac_f16_e32 v105, 0x34f2, v1
	v_fmac_f16_e32 v169, 0x34f2, v1
	v_fmac_f16_e32 v149, 0x34f2, v17
	v_fmamk_f16 v1, v19, 0xbb9c, v2
	v_sub_f16_e32 v20, v21, v107
	v_add_f16_e32 v16, v18, v167
	v_add_f16_e32 v18, v22, v26
	v_fmac_f16_e32 v3, -0.5, v103
	v_fmac_f16_e32 v94, 0x34f2, v17
	v_fmac_f16_e32 v2, 0x3b9c, v19
	v_sub_f16_e32 v17, v166, v165
	v_sub_f16_e32 v22, v167, v168
	v_add_f16_e32 v26, v92, v110
	v_fmac_f16_e32 v1, 0xb8b4, v20
	v_add_f16_e32 v103, v16, v168
	v_fmamk_f16 v16, v20, 0x3b9c, v3
	v_fmac_f16_e32 v2, 0x38b4, v20
	v_add_f16_e32 v106, v21, v107
	v_add_f16_e32 v22, v17, v22
	v_fmac_f16_e32 v3, 0xbb9c, v20
	v_add_f16_e32 v17, v26, v21
	v_fmac_f16_e32 v1, 0x34f2, v18
	v_fmac_f16_e32 v16, 0xb8b4, v19
	v_fma_f16 v20, -0.5, v106, v92
	v_sub_f16_e32 v26, v165, v168
	v_fmac_f16_e32 v2, 0x34f2, v18
	v_fmac_f16_e32 v3, 0x38b4, v19
	v_add_f16_e32 v18, v17, v107
	v_add_f16_e32 v19, v110, v23
	v_fmamk_f16 v17, v26, 0x3b9c, v20
	v_sub_f16_e32 v106, v166, v167
	v_sub_f16_e32 v108, v110, v21
	;; [unrolled: 1-line block ×3, first 2 shown]
	v_fmac_f16_e32 v92, -0.5, v19
	v_add_f16_e32 v165, v18, v23
	v_fmac_f16_e32 v20, 0xbb9c, v26
	v_sub_f16_e32 v18, v21, v110
	v_sub_f16_e32 v21, v107, v23
	v_add_f16_e32 v23, v27, v35
	v_fmac_f16_e32 v16, 0x34f2, v22
	v_fmac_f16_e32 v3, 0x34f2, v22
	;; [unrolled: 1-line block ×3, first 2 shown]
	v_add_f16_e32 v19, v108, v164
	v_fmamk_f16 v22, v106, 0xbb9c, v92
	v_fmac_f16_e32 v20, 0xb8b4, v106
	v_add_f16_e32 v107, v18, v21
	v_fmac_f16_e32 v92, 0x3b9c, v106
	v_add_f16_e32 v21, v0, v24
	v_fma_f16 v18, -0.5, v23, v0
	v_sub_f16_e32 v106, v25, v68
	v_fmac_f16_e32 v17, 0x34f2, v19
	v_fmac_f16_e32 v22, 0x38b4, v26
	v_fmac_f16_e32 v20, 0x34f2, v19
	v_fmac_f16_e32 v92, 0xb8b4, v26
	v_add_f16_e32 v19, v21, v27
	v_fmamk_f16 v21, v106, 0xbb9c, v18
	v_sub_f16_e32 v23, v29, v32
	v_sub_f16_e32 v26, v24, v27
	;; [unrolled: 1-line block ×3, first 2 shown]
	v_fmac_f16_e32 v18, 0x3b9c, v106
	v_add_f16_e32 v110, v24, v98
	v_lshrrev_b32_e32 v91, 16, v0
	v_fmac_f16_e32 v22, 0x34f2, v107
	v_fmac_f16_e32 v21, 0xb8b4, v23
	v_add_f16_e32 v26, v26, v108
	v_fmac_f16_e32 v18, 0x38b4, v23
	v_fmac_f16_e32 v0, -0.5, v110
	v_fmac_f16_e32 v92, 0x34f2, v107
	v_add_f16_e32 v107, v29, v32
	v_sub_f16_e32 v108, v27, v24
	v_sub_f16_e32 v110, v35, v98
	v_fmac_f16_e32 v21, 0x34f2, v26
	v_fmac_f16_e32 v18, 0x34f2, v26
	v_fmamk_f16 v26, v23, 0x3b9c, v0
	v_fmac_f16_e32 v0, 0xbb9c, v23
	v_fma_f16 v23, -0.5, v107, v91
	v_add_f16_e32 v107, v108, v110
	v_add_f16_e32 v108, v25, v68
	;; [unrolled: 1-line block ×4, first 2 shown]
	v_fmac_f16_e32 v26, 0xb8b4, v106
	v_fmac_f16_e32 v0, 0x38b4, v106
	v_sub_f16_e32 v35, v27, v35
	v_fmac_f16_e32 v91, -0.5, v108
	v_add_f16_e32 v19, v19, v98
	v_sub_f16_e32 v98, v24, v98
	v_add_f16_e32 v106, v164, v29
	v_fmac_f16_e32 v26, 0x34f2, v107
	v_fmac_f16_e32 v0, 0x34f2, v107
	v_sub_f16_e32 v107, v25, v29
	v_fmamk_f16 v27, v35, 0xbb9c, v91
	v_sub_f16_e32 v25, v29, v25
	v_sub_f16_e32 v29, v32, v68
	v_fmac_f16_e32 v91, 0x3b9c, v35
	v_fmamk_f16 v24, v98, 0x3b9c, v23
	v_sub_f16_e32 v108, v68, v32
	v_fmac_f16_e32 v23, 0xbb9c, v98
	v_fmac_f16_e32 v27, 0x38b4, v98
	v_add_f16_e32 v29, v25, v29
	v_fmac_f16_e32 v91, 0xb8b4, v98
	v_add_f16_e32 v106, v106, v32
	v_fmac_f16_e32 v24, 0x38b4, v35
	v_add_f16_e32 v32, v107, v108
	v_fmac_f16_e32 v23, 0xb8b4, v35
	v_fmac_f16_e32 v27, 0x34f2, v29
	;; [unrolled: 1-line block ×3, first 2 shown]
	v_pack_b32_f16 v29, v33, v142
	v_pack_b32_f16 v30, v30, v111
	v_fmac_f16_e32 v24, 0x34f2, v32
	v_fmac_f16_e32 v23, 0x34f2, v32
	v_pack_b32_f16 v32, v34, v112
	v_pack_b32_f16 v31, v31, v95
	;; [unrolled: 1-line block ×5, first 2 shown]
	v_add_f16_e32 v25, v106, v68
	v_pack_b32_f16 v35, v143, v144
	v_pack_b32_f16 v68, v69, v93
	ds_write2_b32 v150, v29, v30 offset1:28
	ds_write2_b32 v150, v32, v31 offset0:56 offset1:84
	ds_write_b32 v150, v28 offset:448
	ds_write2_b32 v151, v33, v34 offset1:28
	ds_write2_b32 v151, v35, v68 offset0:56 offset1:84
	v_pack_b32_f16 v28, v96, v146
	v_pack_b32_f16 v29, v145, v148
	;; [unrolled: 1-line block ×8, first 2 shown]
	ds_write_b32 v151, v28 offset:448
	ds_write2_b32 v153, v29, v30 offset1:28
	ds_write2_b32 v153, v31, v32 offset0:56 offset1:84
	ds_write_b32 v153, v33 offset:448
	ds_write2_b32 v152, v34, v35 offset1:28
	v_pack_b32_f16 v28, v16, v22
	v_pack_b32_f16 v29, v3, v92
	;; [unrolled: 1-line block ×8, first 2 shown]
	ds_write2_b32 v152, v28, v29 offset0:56 offset1:84
	ds_write_b32 v152, v30 offset:448
	ds_write2_b32 v154, v31, v32 offset1:28
	ds_write2_b32 v154, v33, v34 offset0:56 offset1:84
	ds_write_b32 v154, v35 offset:448
	s_waitcnt lgkmcnt(0)
	s_barrier
	buffer_gl0_inv
	ds_read_b32 v98, v113 offset:2800
	ds_read_b32 v97, v113 offset:5600
	;; [unrolled: 1-line block ×14, first 2 shown]
	ds_read_b32 v28, v113
	ds_read_b32 v29, v113 offset:42000
	s_and_saveexec_b32 s0, s1
	s_cbranch_execz .LBB0_27
; %bb.26:
	ds_read_b32 v1, v113 offset:1792
	ds_read_b32 v16, v113 offset:4592
	;; [unrolled: 1-line block ×16, first 2 shown]
	s_waitcnt lgkmcnt(15)
	v_lshrrev_b32_e32 v17, 16, v1
	s_waitcnt lgkmcnt(14)
	v_lshrrev_b32_e32 v22, 16, v16
	;; [unrolled: 2-line block ×16, first 2 shown]
.LBB0_27:
	s_or_b32 exec_lo, exec_lo, s0
	s_waitcnt lgkmcnt(15)
	v_lshrrev_b32_e32 v100, 16, v98
	s_waitcnt lgkmcnt(14)
	v_lshrrev_b32_e32 v101, 16, v97
	;; [unrolled: 2-line block ×4, first 2 shown]
	v_mul_f16_sdwa v144, v44, v98 dst_sel:DWORD dst_unused:UNUSED_PAD src0_sel:WORD_1 src1_sel:DWORD
	v_mul_f16_sdwa v139, v44, v100 dst_sel:DWORD dst_unused:UNUSED_PAD src0_sel:WORD_1 src1_sel:DWORD
	;; [unrolled: 1-line block ×4, first 2 shown]
	s_waitcnt lgkmcnt(11)
	v_lshrrev_b32_e32 v104, 16, v94
	s_waitcnt lgkmcnt(10)
	v_lshrrev_b32_e32 v105, 16, v93
	v_fmac_f16_e32 v139, v44, v98
	v_mul_f16_sdwa v98, v45, v97 dst_sel:DWORD dst_unused:UNUSED_PAD src0_sel:WORD_1 src1_sel:DWORD
	s_waitcnt lgkmcnt(9)
	v_lshrrev_b32_e32 v106, 16, v69
	v_fmac_f16_e32 v145, v45, v97
	v_mul_f16_sdwa v97, v46, v96 dst_sel:DWORD dst_unused:UNUSED_PAD src0_sel:WORD_1 src1_sel:DWORD
	v_fmac_f16_e32 v146, v46, v96
	v_fma_f16 v45, v45, v101, -v98
	v_mul_f16_sdwa v96, v47, v103 dst_sel:DWORD dst_unused:UNUSED_PAD src0_sel:WORD_1 src1_sel:DWORD
	v_mul_f16_sdwa v98, v47, v95 dst_sel:DWORD dst_unused:UNUSED_PAD src0_sel:WORD_1 src1_sel:DWORD
	s_waitcnt lgkmcnt(8)
	v_lshrrev_b32_e32 v107, 16, v68
	v_fma_f16 v44, v44, v100, -v144
	v_fma_f16 v46, v46, v102, -v97
	v_mul_f16_sdwa v97, v40, v104 dst_sel:DWORD dst_unused:UNUSED_PAD src0_sel:WORD_1 src1_sel:DWORD
	v_mul_f16_sdwa v100, v40, v94 dst_sel:DWORD dst_unused:UNUSED_PAD src0_sel:WORD_1 src1_sel:DWORD
	v_fmac_f16_e32 v96, v47, v95
	v_fma_f16 v47, v47, v103, -v98
	v_mul_f16_sdwa v95, v41, v105 dst_sel:DWORD dst_unused:UNUSED_PAD src0_sel:WORD_1 src1_sel:DWORD
	v_mul_f16_sdwa v98, v42, v106 dst_sel:DWORD dst_unused:UNUSED_PAD src0_sel:WORD_1 src1_sel:DWORD
	s_waitcnt lgkmcnt(7)
	v_lshrrev_b32_e32 v108, 16, v35
	s_waitcnt lgkmcnt(6)
	v_lshrrev_b32_e32 v109, 16, v34
	v_fmac_f16_e32 v97, v40, v94
	v_fma_f16 v40, v40, v104, -v100
	v_mul_f16_sdwa v94, v41, v93 dst_sel:DWORD dst_unused:UNUSED_PAD src0_sel:WORD_1 src1_sel:DWORD
	v_fmac_f16_e32 v95, v41, v93
	v_mul_f16_sdwa v93, v42, v69 dst_sel:DWORD dst_unused:UNUSED_PAD src0_sel:WORD_1 src1_sel:DWORD
	v_mul_f16_sdwa v100, v43, v107 dst_sel:DWORD dst_unused:UNUSED_PAD src0_sel:WORD_1 src1_sel:DWORD
	v_fmac_f16_e32 v98, v42, v69
	v_mul_f16_sdwa v69, v43, v68 dst_sel:DWORD dst_unused:UNUSED_PAD src0_sel:WORD_1 src1_sel:DWORD
	s_waitcnt lgkmcnt(5)
	v_lshrrev_b32_e32 v110, 16, v33
	s_waitcnt lgkmcnt(4)
	v_lshrrev_b32_e32 v111, 16, v32
	;; [unrolled: 2-line block ×3, first 2 shown]
	v_fma_f16 v41, v41, v105, -v94
	v_fma_f16 v42, v42, v106, -v93
	v_fmac_f16_e32 v100, v43, v68
	v_mul_f16_sdwa v68, v36, v108 dst_sel:DWORD dst_unused:UNUSED_PAD src0_sel:WORD_1 src1_sel:DWORD
	v_mul_f16_sdwa v93, v36, v35 dst_sel:DWORD dst_unused:UNUSED_PAD src0_sel:WORD_1 src1_sel:DWORD
	v_fma_f16 v43, v43, v107, -v69
	v_mul_f16_sdwa v69, v37, v109 dst_sel:DWORD dst_unused:UNUSED_PAD src0_sel:WORD_1 src1_sel:DWORD
	v_mul_f16_sdwa v94, v37, v34 dst_sel:DWORD dst_unused:UNUSED_PAD src0_sel:WORD_1 src1_sel:DWORD
	s_waitcnt lgkmcnt(2)
	v_lshrrev_b32_e32 v142, 16, v30
	v_fmac_f16_e32 v68, v36, v35
	v_fma_f16 v35, v36, v108, -v93
	v_mul_f16_sdwa v36, v38, v110 dst_sel:DWORD dst_unused:UNUSED_PAD src0_sel:WORD_1 src1_sel:DWORD
	v_fmac_f16_e32 v69, v37, v34
	v_fma_f16 v34, v37, v109, -v94
	v_mul_f16_sdwa v37, v38, v33 dst_sel:DWORD dst_unused:UNUSED_PAD src0_sel:WORD_1 src1_sel:DWORD
	v_mul_f16_sdwa v93, v39, v111 dst_sel:DWORD dst_unused:UNUSED_PAD src0_sel:WORD_1 src1_sel:DWORD
	;; [unrolled: 1-line block ×3, first 2 shown]
	v_fmac_f16_e32 v36, v38, v33
	v_mul_f16_sdwa v33, v39, v32 dst_sel:DWORD dst_unused:UNUSED_PAD src0_sel:WORD_1 src1_sel:DWORD
	v_fma_f16 v37, v38, v110, -v37
	v_fmac_f16_e32 v93, v39, v32
	v_mul_f16_sdwa v32, v75, v31 dst_sel:DWORD dst_unused:UNUSED_PAD src0_sel:WORD_1 src1_sel:DWORD
	v_fmac_f16_e32 v94, v75, v31
	v_mul_f16_sdwa v31, v76, v142 dst_sel:DWORD dst_unused:UNUSED_PAD src0_sel:WORD_1 src1_sel:DWORD
	v_mul_f16_sdwa v38, v76, v30 dst_sel:DWORD dst_unused:UNUSED_PAD src0_sel:WORD_1 src1_sel:DWORD
	s_waitcnt lgkmcnt(1)
	v_lshrrev_b32_e32 v99, 16, v28
	v_fma_f16 v33, v39, v111, -v33
	s_waitcnt lgkmcnt(0)
	v_lshrrev_b32_e32 v143, 16, v29
	v_fmac_f16_e32 v31, v76, v30
	v_fma_f16 v30, v76, v142, -v38
	v_sub_f16_e32 v43, v99, v43
	v_sub_f16_e32 v33, v47, v33
	;; [unrolled: 1-line block ×3, first 2 shown]
	v_fma_f16 v32, v75, v112, -v32
	v_sub_f16_e32 v30, v41, v30
	v_mul_f16_sdwa v39, v77, v143 dst_sel:DWORD dst_unused:UNUSED_PAD src0_sel:WORD_1 src1_sel:DWORD
	v_mul_f16_sdwa v75, v77, v29 dst_sel:DWORD dst_unused:UNUSED_PAD src0_sel:WORD_1 src1_sel:DWORD
	v_sub_f16_e32 v38, v28, v100
	v_sub_f16_e32 v69, v145, v69
	v_fma_f16 v76, v99, 2.0, -v43
	v_fma_f16 v47, v47, 2.0, -v33
	;; [unrolled: 1-line block ×4, first 2 shown]
	v_fmac_f16_e32 v39, v77, v29
	v_fma_f16 v29, v77, v143, -v75
	v_sub_f16_e32 v75, v96, v93
	v_sub_f16_e32 v31, v95, v31
	;; [unrolled: 1-line block ×3, first 2 shown]
	v_add_f16_e32 v33, v38, v33
	v_sub_f16_e32 v41, v45, v41
	v_add_f16_e32 v30, v69, v30
	v_fma_f16 v28, v28, 2.0, -v38
	v_fma_f16 v77, v96, 2.0, -v75
	v_fma_f16 v93, v145, 2.0, -v69
	v_sub_f16_e32 v68, v139, v68
	v_fma_f16 v95, v95, 2.0, -v31
	v_sub_f16_e32 v94, v97, v94
	v_sub_f16_e32 v32, v40, v32
	;; [unrolled: 1-line block ×7, first 2 shown]
	v_fma_f16 v76, v76, 2.0, -v47
	v_fma_f16 v38, v38, 2.0, -v33
	v_sub_f16_e32 v31, v34, v31
	v_fma_f16 v45, v45, 2.0, -v41
	v_fma_f16 v69, v69, 2.0, -v30
	v_sub_f16_e32 v35, v44, v35
	v_fma_f16 v96, v139, 2.0, -v68
	v_fma_f16 v97, v97, 2.0, -v94
	;; [unrolled: 1-line block ×6, first 2 shown]
	v_sub_f16_e32 v95, v93, v95
	v_fma_f16 v43, v43, 2.0, -v75
	v_fma_f16 v34, v34, 2.0, -v31
	v_add_f16_e32 v32, v68, v32
	v_add_f16_e32 v29, v36, v29
	v_sub_f16_e32 v39, v37, v39
	v_fmamk_f16 v100, v69, 0xb9a8, v38
	v_sub_f16_e32 v45, v76, v45
	v_fma_f16 v46, v46, 2.0, -v37
	v_sub_f16_e32 v77, v28, v77
	v_fma_f16 v93, v93, 2.0, -v95
	v_sub_f16_e32 v97, v96, v97
	v_sub_f16_e32 v94, v35, v94
	;; [unrolled: 1-line block ×3, first 2 shown]
	v_fma_f16 v68, v68, 2.0, -v32
	v_fma_f16 v36, v36, 2.0, -v29
	v_fmamk_f16 v101, v34, 0xb9a8, v43
	v_fmac_f16_e32 v100, 0x39a8, v34
	v_fma_f16 v34, v37, 2.0, -v39
	v_fma_f16 v37, v76, 2.0, -v45
	v_sub_f16_e32 v76, v47, v95
	v_fmamk_f16 v95, v31, 0x39a8, v75
	v_fma_f16 v44, v44, 2.0, -v35
	v_fma_f16 v96, v96, 2.0, -v97
	;; [unrolled: 1-line block ×4, first 2 shown]
	v_fmac_f16_e32 v101, 0xb9a8, v69
	v_fmamk_f16 v69, v30, 0x39a8, v33
	v_add_f16_e32 v41, v77, v41
	v_fmac_f16_e32 v95, 0xb9a8, v30
	v_fmamk_f16 v30, v36, 0xb9a8, v68
	v_fma_f16 v28, v28, 2.0, -v77
	v_fmac_f16_e32 v69, 0x39a8, v31
	v_fma_f16 v31, v77, 2.0, -v41
	v_sub_f16_e32 v77, v96, v99
	v_fmamk_f16 v99, v34, 0xb9a8, v35
	v_fmac_f16_e32 v30, 0x39a8, v34
	v_sub_f16_e32 v40, v44, v40
	v_sub_f16_e32 v42, v46, v42
	v_sub_f16_e32 v93, v28, v93
	v_fmac_f16_e32 v99, 0xb9a8, v36
	v_fma_f16 v36, v68, 2.0, -v30
	v_fmamk_f16 v68, v29, 0x39a8, v32
	v_fma_f16 v46, v46, 2.0, -v42
	v_fma_f16 v43, v43, 2.0, -v101
	;; [unrolled: 1-line block ×4, first 2 shown]
	v_add_f16_e32 v42, v97, v42
	v_sub_f16_e32 v96, v40, v98
	v_fmamk_f16 v98, v39, 0x39a8, v94
	v_fma_f16 v35, v35, 2.0, -v99
	v_fmac_f16_e32 v68, 0x39a8, v39
	v_fma_f16 v44, v44, 2.0, -v40
	v_fma_f16 v28, v28, 2.0, -v93
	;; [unrolled: 1-line block ×7, first 2 shown]
	v_fmac_f16_e32 v98, 0xb9a8, v29
	v_fma_f16 v32, v32, 2.0, -v68
	v_fmamk_f16 v97, v35, 0xbb64, v43
	v_sub_f16_e32 v29, v28, v75
	v_fmamk_f16 v75, v36, 0xbb64, v38
	v_fma_f16 v94, v94, 2.0, -v98
	v_fmamk_f16 v102, v40, 0xb9a8, v47
	v_fmac_f16_e32 v97, 0xb61f, v36
	v_fmamk_f16 v36, v32, 0xb61f, v33
	v_sub_f16_e32 v46, v44, v46
	v_fmac_f16_e32 v75, 0x361f, v35
	v_fmamk_f16 v35, v39, 0xb9a8, v31
	v_fmac_f16_e32 v102, 0xb9a8, v39
	v_fmamk_f16 v39, v94, 0xb61f, v34
	v_fmac_f16_e32 v36, 0x3b64, v94
	v_fma_f16 v44, v44, 2.0, -v46
	v_fmac_f16_e32 v35, 0x39a8, v40
	v_fma_f16 v40, v43, 2.0, -v97
	v_fma_f16 v43, v47, 2.0, -v102
	v_fmac_f16_e32 v39, 0xbb64, v32
	v_fma_f16 v32, v33, 2.0, -v36
	v_add_f16_e32 v33, v93, v46
	v_sub_f16_e32 v46, v45, v77
	v_fmamk_f16 v47, v30, 0x361f, v100
	v_fmamk_f16 v77, v99, 0x361f, v101
	v_sub_f16_e32 v44, v37, v44
	v_fmamk_f16 v94, v96, 0x39a8, v76
	v_fmamk_f16 v103, v98, 0x3b64, v95
	v_fmac_f16_e32 v47, 0x3b64, v99
	v_fmac_f16_e32 v77, 0xbb64, v30
	v_fmamk_f16 v30, v42, 0x39a8, v41
	v_fmamk_f16 v99, v68, 0x3b64, v69
	v_fma_f16 v28, v28, 2.0, -v29
	v_fma_f16 v37, v37, 2.0, -v44
	v_fma_f16 v38, v38, 2.0, -v75
	v_fmac_f16_e32 v30, 0x39a8, v96
	v_fmac_f16_e32 v94, 0xb9a8, v42
	;; [unrolled: 1-line block ×4, first 2 shown]
	v_fma_f16 v31, v31, 2.0, -v35
	v_fma_f16 v34, v34, 2.0, -v39
	;; [unrolled: 1-line block ×10, first 2 shown]
	v_pack_b32_f16 v28, v28, v37
	v_pack_b32_f16 v37, v38, v40
	v_pack_b32_f16 v31, v31, v43
	v_pack_b32_f16 v32, v32, v34
	v_add_nc_u32_e32 v34, 0x400, v162
	v_pack_b32_f16 v38, v93, v45
	v_pack_b32_f16 v40, v100, v42
	v_add_nc_u32_e32 v42, 0x800, v162
	s_barrier
	buffer_gl0_inv
	ds_write2_b32 v162, v28, v37 offset1:140
	ds_write2_b32 v34, v31, v32 offset0:24 offset1:164
	ds_write2_b32 v42, v38, v40 offset0:48 offset1:188
	v_pack_b32_f16 v28, v41, v68
	v_pack_b32_f16 v31, v69, v76
	v_add_nc_u32_e32 v32, 0xc00, v162
	v_pack_b32_f16 v29, v29, v44
	v_pack_b32_f16 v34, v75, v97
	v_add_nc_u32_e32 v37, 0x1000, v162
	;; [unrolled: 3-line block ×5, first 2 shown]
	ds_write2_b32 v32, v28, v31 offset0:72 offset1:212
	ds_write2_b32 v37, v29, v34 offset0:96 offset1:236
	;; [unrolled: 1-line block ×5, first 2 shown]
	s_and_saveexec_b32 s0, s1
	s_cbranch_execz .LBB0_29
; %bb.28:
	v_mul_f16_sdwa v30, v9, v27 dst_sel:DWORD dst_unused:UNUSED_PAD src0_sel:WORD_1 src1_sel:DWORD
	v_mul_f16_sdwa v31, v9, v26 dst_sel:DWORD dst_unused:UNUSED_PAD src0_sel:WORD_1 src1_sel:DWORD
	v_mul_f16_sdwa v33, v7, v19 dst_sel:DWORD dst_unused:UNUSED_PAD src0_sel:WORD_1 src1_sel:DWORD
	v_mul_f16_sdwa v28, v5, v3 dst_sel:DWORD dst_unused:UNUSED_PAD src0_sel:WORD_1 src1_sel:DWORD
	v_mul_f16_sdwa v37, v10, v91 dst_sel:DWORD dst_unused:UNUSED_PAD src0_sel:WORD_1 src1_sel:DWORD
	v_fmac_f16_e32 v30, v9, v26
	v_fma_f16 v9, v9, v27, -v31
	v_mul_f16_sdwa v31, v5, v92 dst_sel:DWORD dst_unused:UNUSED_PAD src0_sel:WORD_1 src1_sel:DWORD
	v_mul_f16_sdwa v39, v4, v16 dst_sel:DWORD dst_unused:UNUSED_PAD src0_sel:WORD_1 src1_sel:DWORD
	;; [unrolled: 1-line block ×4, first 2 shown]
	v_fmac_f16_e32 v37, v10, v0
	v_fmac_f16_e32 v31, v5, v3
	v_fma_f16 v3, v7, v25, -v33
	v_mul_f16_sdwa v33, v6, v2 dst_sel:DWORD dst_unused:UNUSED_PAD src0_sel:WORD_1 src1_sel:DWORD
	v_fma_f16 v39, v4, v22, -v39
	v_mul_f16_sdwa v43, v8, v24 dst_sel:DWORD dst_unused:UNUSED_PAD src0_sel:WORD_1 src1_sel:DWORD
	v_mul_f16_sdwa v0, v10, v0 dst_sel:DWORD dst_unused:UNUSED_PAD src0_sel:WORD_1 src1_sel:DWORD
	;; [unrolled: 1-line block ×3, first 2 shown]
	v_fma_f16 v33, v6, v20, -v33
	v_mul_f16_sdwa v20, v6, v20 dst_sel:DWORD dst_unused:UNUSED_PAD src0_sel:WORD_1 src1_sel:DWORD
	v_mul_f16_sdwa v22, v4, v22 dst_sel:DWORD dst_unused:UNUSED_PAD src0_sel:WORD_1 src1_sel:DWORD
	;; [unrolled: 1-line block ×5, first 2 shown]
	v_fmac_f16_e32 v20, v6, v2
	v_mul_f16_sdwa v2, v14, v88 dst_sel:DWORD dst_unused:UNUSED_PAD src0_sel:WORD_1 src1_sel:DWORD
	v_fmac_f16_e32 v35, v11, v18
	v_mul_f16_sdwa v38, v74, v160 dst_sel:DWORD dst_unused:UNUSED_PAD src0_sel:WORD_1 src1_sel:DWORD
	v_mul_f16_sdwa v40, v12, v70 dst_sel:DWORD dst_unused:UNUSED_PAD src0_sel:WORD_1 src1_sel:DWORD
	v_fma_f16 v36, v14, v88, -v36
	v_mul_f16_sdwa v44, v72, v158 dst_sel:DWORD dst_unused:UNUSED_PAD src0_sel:WORD_1 src1_sel:DWORD
	v_fmac_f16_e32 v43, v8, v21
	v_fma_f16 v0, v10, v91, -v0
	v_fma_f16 v10, v74, v160, -v45
	v_mul_f16_sdwa v6, v8, v21 dst_sel:DWORD dst_unused:UNUSED_PAD src0_sel:WORD_1 src1_sel:DWORD
	v_mul_f16_sdwa v21, v72, v157 dst_sel:DWORD dst_unused:UNUSED_PAD src0_sel:WORD_1 src1_sel:DWORD
	;; [unrolled: 1-line block ×3, first 2 shown]
	v_fmac_f16_e32 v2, v14, v71
	v_fmac_f16_e32 v22, v4, v16
	v_mul_f16_sdwa v14, v11, v18 dst_sel:DWORD dst_unused:UNUSED_PAD src0_sel:WORD_1 src1_sel:DWORD
	v_mul_f16_sdwa v16, v7, v25 dst_sel:DWORD dst_unused:UNUSED_PAD src0_sel:WORD_1 src1_sel:DWORD
	;; [unrolled: 1-line block ×3, first 2 shown]
	v_fma_f16 v28, v5, v92, -v28
	v_fma_f16 v29, v13, v90, -v29
	;; [unrolled: 1-line block ×3, first 2 shown]
	v_mul_f16_sdwa v32, v13, v90 dst_sel:DWORD dst_unused:UNUSED_PAD src0_sel:WORD_1 src1_sel:DWORD
	v_mul_f16_sdwa v34, v15, v155 dst_sel:DWORD dst_unused:UNUSED_PAD src0_sel:WORD_1 src1_sel:DWORD
	v_fmac_f16_e32 v26, v73, v161
	v_fmac_f16_e32 v38, v74, v159
	v_fma_f16 v40, v12, v87, -v40
	v_fmac_f16_e32 v44, v72, v157
	v_fma_f16 v6, v8, v24, -v6
	v_fma_f16 v8, v72, v158, -v21
	v_fmac_f16_e32 v45, v12, v70
	v_fma_f16 v11, v11, v23, -v14
	v_fmac_f16_e32 v16, v7, v19
	v_fmac_f16_e32 v18, v15, v155
	;; [unrolled: 1-line block ×3, first 2 shown]
	v_fma_f16 v5, v15, v156, -v34
	v_sub_f16_e32 v29, v28, v29
	v_sub_f16_e32 v26, v30, v26
	;; [unrolled: 1-line block ×17, first 2 shown]
	v_add_f16_e32 v21, v10, v2
	v_add_f16_e32 v24, v8, v12
	v_sub_f16_e32 v7, v36, v38
	v_sub_f16_e32 v14, v40, v4
	;; [unrolled: 1-line block ×3, first 2 shown]
	v_add_f16_e32 v34, v13, v27
	v_add_f16_e32 v35, v5, v32
	v_fmamk_f16 v15, v21, 0x39a8, v24
	v_fmamk_f16 v19, v7, 0x39a8, v14
	;; [unrolled: 1-line block ×3, first 2 shown]
	v_fma_f16 v28, v28, 2.0, -v29
	v_fmamk_f16 v42, v34, 0x39a8, v35
	v_fmac_f16_e32 v15, 0x39a8, v7
	v_fmac_f16_e32 v19, 0xb9a8, v21
	;; [unrolled: 1-line block ×3, first 2 shown]
	v_fma_f16 v9, v9, 2.0, -v13
	v_fma_f16 v1, v1, 2.0, -v32
	;; [unrolled: 1-line block ×21, first 2 shown]
	v_sub_f16_e32 v9, v28, v9
	v_sub_f16_e32 v13, v1, v13
	;; [unrolled: 1-line block ×7, first 2 shown]
	v_fma_f16 v32, v32, 2.0, -v35
	v_fma_f16 v12, v12, 2.0, -v24
	v_fmamk_f16 v30, v7, 0xb9a8, v34
	v_fmamk_f16 v37, v29, 0xb9a8, v11
	v_sub_f16_e32 v21, v31, v21
	v_fmac_f16_e32 v42, 0x39a8, v41
	v_fmamk_f16 v18, v19, 0x3b64, v44
	v_add_f16_e32 v5, v9, v13
	v_add_f16_e32 v22, v0, v4
	v_fmamk_f16 v26, v27, 0xb9a8, v32
	v_fmamk_f16 v36, v2, 0xb9a8, v12
	v_fmac_f16_e32 v30, 0xb9a8, v2
	v_fmac_f16_e32 v37, 0xb9a8, v27
	v_sub_f16_e32 v2, v6, v20
	v_sub_f16_e32 v27, v3, v21
	v_fmamk_f16 v25, v15, 0x3b64, v42
	v_fmac_f16_e32 v26, 0x39a8, v29
	v_fmac_f16_e32 v36, 0x39a8, v7
	v_fmamk_f16 v7, v22, 0x39a8, v5
	v_fmac_f16_e32 v18, 0xb61f, v15
	v_fmamk_f16 v40, v2, 0x39a8, v27
	v_fma_f16 v8, v8, 2.0, -v20
	v_fma_f16 v20, v35, 2.0, -v42
	;; [unrolled: 1-line block ×3, first 2 shown]
	v_fmac_f16_e32 v25, 0x361f, v19
	v_fmamk_f16 v29, v36, 0x361f, v26
	v_fmac_f16_e32 v7, 0x39a8, v2
	v_fmac_f16_e32 v40, 0xb9a8, v22
	v_fma_f16 v17, v17, 2.0, -v3
	v_fma_f16 v9, v28, 2.0, -v9
	;; [unrolled: 1-line block ×4, first 2 shown]
	v_fmamk_f16 v19, v15, 0xb61f, v20
	v_fma_f16 v4, v4, 2.0, -v22
	v_fma_f16 v22, v23, 2.0, -v44
	v_fmac_f16_e32 v29, 0x3b64, v30
	v_fma_f16 v1, v1, 2.0, -v13
	v_fma_f16 v21, v31, 2.0, -v21
	;; [unrolled: 1-line block ×5, first 2 shown]
	v_sub_f16_e32 v9, v17, v9
	v_sub_f16_e32 v8, v10, v8
	v_fma_f16 v5, v13, 2.0, -v5
	v_fmac_f16_e32 v19, 0x3b64, v14
	v_fmamk_f16 v14, v14, 0xb61f, v22
	v_fma_f16 v41, v26, 2.0, -v29
	v_sub_f16_e32 v21, v1, v21
	v_sub_f16_e32 v0, v39, v0
	;; [unrolled: 1-line block ×3, first 2 shown]
	v_fma_f16 v2, v6, 2.0, -v2
	v_fmamk_f16 v6, v4, 0xb9a8, v5
	v_fma_f16 v26, v32, 2.0, -v26
	v_fma_f16 v12, v12, 2.0, -v36
	v_fma_f16 v3, v3, 2.0, -v27
	v_fmac_f16_e32 v14, 0xbb64, v15
	v_fma_f16 v15, v34, 2.0, -v30
	v_fma_f16 v11, v11, 2.0, -v37
	v_fmamk_f16 v38, v30, 0x361f, v37
	v_add_f16_e32 v24, v21, v0
	v_fma_f16 v28, v9, 2.0, -v13
	v_fmac_f16_e32 v6, 0x39a8, v2
	v_fmamk_f16 v30, v12, 0xbb64, v26
	v_fmamk_f16 v2, v2, 0xb9a8, v3
	v_fma_f16 v1, v1, 2.0, -v21
	v_fma_f16 v8, v10, 2.0, -v8
	;; [unrolled: 1-line block ×4, first 2 shown]
	v_fmamk_f16 v10, v15, 0xbb64, v11
	v_fmac_f16_e32 v30, 0x361f, v15
	v_sub_f16_e32 v8, v1, v8
	v_fmac_f16_e32 v2, 0xb9a8, v4
	v_sub_f16_e32 v0, v9, v0
	v_fmac_f16_e32 v10, 0xb61f, v12
	v_mad_u16 v12, 0x8c0, v140, v141
	v_mov_b32_e32 v15, 2
	v_fmac_f16_e32 v38, 0xbb64, v36
	v_fma_f16 v20, v20, 2.0, -v19
	v_fma_f16 v5, v5, 2.0, -v6
	;; [unrolled: 1-line block ×8, first 2 shown]
	v_lshlrev_b32_sdwa v12, v15, v12 dst_sel:DWORD dst_unused:UNUSED_PAD src0_sel:DWORD src1_sel:WORD_0
	v_fma_f16 v43, v37, 2.0, -v38
	v_fma_f16 v23, v21, 2.0, -v24
	;; [unrolled: 1-line block ×3, first 2 shown]
	v_pack_b32_f16 v1, v1, v9
	v_pack_b32_f16 v4, v4, v11
	;; [unrolled: 1-line block ×4, first 2 shown]
	v_fma_f16 v20, v27, 2.0, -v40
	v_fma_f16 v21, v44, 2.0, -v18
	v_add_nc_u32_e32 v9, 0x400, v12
	v_pack_b32_f16 v11, v23, v28
	v_pack_b32_f16 v15, v41, v43
	v_add_nc_u32_e32 v17, 0x800, v12
	ds_write2_b32 v12, v1, v4 offset1:140
	ds_write2_b32 v9, v3, v5 offset0:24 offset1:164
	ds_write2_b32 v17, v11, v15 offset0:48 offset1:188
	v_pack_b32_f16 v1, v31, v20
	v_pack_b32_f16 v3, v16, v21
	v_add_nc_u32_e32 v4, 0xc00, v12
	v_pack_b32_f16 v0, v8, v0
	v_pack_b32_f16 v5, v30, v10
	v_add_nc_u32_e32 v8, 0x1000, v12
	;; [unrolled: 3-line block ×5, first 2 shown]
	ds_write2_b32 v4, v1, v3 offset0:72 offset1:212
	ds_write2_b32 v8, v0, v5 offset0:96 offset1:236
	;; [unrolled: 1-line block ×5, first 2 shown]
.LBB0_29:
	s_or_b32 exec_lo, exec_lo, s0
	s_waitcnt lgkmcnt(0)
	s_barrier
	buffer_gl0_inv
	ds_read2st64_b32 v[2:3], v113 offset1:7
	ds_read2st64_b32 v[0:1], v113 offset0:28 offset1:35
	ds_read2st64_b32 v[11:12], v113 offset0:70 offset1:77
	ds_read2st64_b32 v[14:15], v113 offset0:98 offset1:105
	ds_read2st64_b32 v[16:17], v113 offset0:140 offset1:147
	ds_read2st64_b32 v[18:19], v113 offset0:42 offset1:49
	ds_read2st64_b32 v[20:21], v113 offset0:112 offset1:119
	ds_read2st64_b32 v[4:5], v113 offset0:14 offset1:21
	ds_read2st64_b32 v[22:23], v113 offset0:84 offset1:91
	ds_read2st64_b32 v[24:25], v113 offset0:154 offset1:161
	ds_read2st64_b32 v[26:27], v113 offset0:56 offset1:63
	ds_read2st64_b32 v[28:29], v113 offset0:126 offset1:133
	ds_read_b32 v33, v113 offset:43008
	s_mov_b32 s4, 0xe434a9b1
	s_mov_b32 s5, 0x3f1767dc
	s_waitcnt lgkmcnt(12)
	v_lshrrev_b32_e32 v9, 16, v2
	s_waitcnt lgkmcnt(11)
	v_lshrrev_b32_e32 v13, 16, v1
	;; [unrolled: 2-line block ×6, first 2 shown]
	v_mul_f16_sdwa v46, v64, v13 dst_sel:DWORD dst_unused:UNUSED_PAD src0_sel:WORD_1 src1_sel:DWORD
	v_lshrrev_b32_e32 v35, 16, v12
	v_mul_f16_sdwa v71, v65, v30 dst_sel:DWORD dst_unused:UNUSED_PAD src0_sel:WORD_1 src1_sel:DWORD
	v_mul_f16_sdwa v72, v65, v11 dst_sel:DWORD dst_unused:UNUSED_PAD src0_sel:WORD_1 src1_sel:DWORD
	;; [unrolled: 1-line block ×3, first 2 shown]
	v_fmac_f16_e32 v46, v64, v1
	v_mul_f16_sdwa v1, v64, v1 dst_sel:DWORD dst_unused:UNUSED_PAD src0_sel:WORD_1 src1_sel:DWORD
	v_mul_f16_sdwa v74, v66, v15 dst_sel:DWORD dst_unused:UNUSED_PAD src0_sel:WORD_1 src1_sel:DWORD
	s_waitcnt lgkmcnt(6)
	v_lshrrev_b32_e32 v36, 16, v20
	v_lshrrev_b32_e32 v37, 16, v17
	v_fmac_f16_e32 v71, v65, v11
	v_fma_f16 v64, v64, v13, -v1
	v_fma_f16 v30, v65, v30, -v72
	v_fmac_f16_e32 v73, v66, v15
	v_fma_f16 v31, v66, v31, -v74
	v_mul_f16_sdwa v65, v67, v32 dst_sel:DWORD dst_unused:UNUSED_PAD src0_sel:WORD_1 src1_sel:DWORD
	v_mul_f16_sdwa v1, v67, v16 dst_sel:DWORD dst_unused:UNUSED_PAD src0_sel:WORD_1 src1_sel:DWORD
	;; [unrolled: 1-line block ×5, first 2 shown]
	s_waitcnt lgkmcnt(4)
	v_lshrrev_b32_e32 v39, 16, v22
	v_lshrrev_b32_e32 v40, 16, v21
	v_fmac_f16_e32 v65, v67, v16
	v_fma_f16 v32, v67, v32, -v1
	v_fmac_f16_e32 v66, v60, v18
	v_fma_f16 v34, v60, v34, -v11
	v_fmac_f16_e32 v72, v61, v12
	v_mul_f16_sdwa v1, v61, v12 dst_sel:DWORD dst_unused:UNUSED_PAD src0_sel:WORD_1 src1_sel:DWORD
	v_mul_f16_sdwa v60, v62, v36 dst_sel:DWORD dst_unused:UNUSED_PAD src0_sel:WORD_1 src1_sel:DWORD
	;; [unrolled: 1-line block ×5, first 2 shown]
	v_lshrrev_b32_e32 v38, 16, v19
	s_waitcnt lgkmcnt(3)
	v_lshrrev_b32_e32 v41, 16, v24
	v_fma_f16 v35, v61, v35, -v1
	v_fmac_f16_e32 v60, v62, v20
	v_fma_f16 v36, v62, v36, -v11
	v_fmac_f16_e32 v67, v63, v17
	v_fma_f16 v37, v63, v37, -v12
	v_mul_f16_sdwa v1, v56, v19 dst_sel:DWORD dst_unused:UNUSED_PAD src0_sel:WORD_1 src1_sel:DWORD
	v_mul_f16_sdwa v62, v57, v39 dst_sel:DWORD dst_unused:UNUSED_PAD src0_sel:WORD_1 src1_sel:DWORD
	;; [unrolled: 1-line block ×4, first 2 shown]
	s_waitcnt lgkmcnt(2)
	v_lshrrev_b32_e32 v42, 16, v26
	v_lshrrev_b32_e32 v43, 16, v23
	v_mul_f16_sdwa v61, v56, v38 dst_sel:DWORD dst_unused:UNUSED_PAD src0_sel:WORD_1 src1_sel:DWORD
	v_fma_f16 v38, v56, v38, -v1
	v_fmac_f16_e32 v62, v57, v22
	v_fma_f16 v22, v57, v39, -v11
	v_fmac_f16_e32 v63, v58, v21
	v_mul_f16_sdwa v1, v58, v21 dst_sel:DWORD dst_unused:UNUSED_PAD src0_sel:WORD_1 src1_sel:DWORD
	v_mul_f16_sdwa v21, v59, v41 dst_sel:DWORD dst_unused:UNUSED_PAD src0_sel:WORD_1 src1_sel:DWORD
	;; [unrolled: 1-line block ×3, first 2 shown]
	v_lshrrev_b32_e32 v45, 16, v25
	v_mul_f16_sdwa v39, v52, v42 dst_sel:DWORD dst_unused:UNUSED_PAD src0_sel:WORD_1 src1_sel:DWORD
	v_mul_f16_sdwa v12, v52, v26 dst_sel:DWORD dst_unused:UNUSED_PAD src0_sel:WORD_1 src1_sel:DWORD
	v_fma_f16 v40, v58, v40, -v1
	v_fmac_f16_e32 v21, v59, v24
	v_fma_f16 v24, v59, v41, -v11
	v_mul_f16_sdwa v41, v53, v43 dst_sel:DWORD dst_unused:UNUSED_PAD src0_sel:WORD_1 src1_sel:DWORD
	v_mul_f16_sdwa v1, v53, v23 dst_sel:DWORD dst_unused:UNUSED_PAD src0_sel:WORD_1 src1_sel:DWORD
	s_waitcnt lgkmcnt(1)
	v_lshrrev_b32_e32 v44, 16, v28
	v_lshrrev_b32_e32 v47, 16, v27
	;; [unrolled: 1-line block ×3, first 2 shown]
	v_fmac_f16_e32 v39, v52, v26
	v_fma_f16 v26, v52, v42, -v12
	v_mul_f16_sdwa v52, v55, v45 dst_sel:DWORD dst_unused:UNUSED_PAD src0_sel:WORD_1 src1_sel:DWORD
	v_fmac_f16_e32 v41, v53, v23
	v_fma_f16 v23, v53, v43, -v1
	v_mul_f16_sdwa v1, v55, v25 dst_sel:DWORD dst_unused:UNUSED_PAD src0_sel:WORD_1 src1_sel:DWORD
	v_lshrrev_b32_e32 v69, 16, v29
	s_waitcnt lgkmcnt(0)
	v_lshrrev_b32_e32 v70, 16, v33
	v_mul_f16_sdwa v42, v54, v44 dst_sel:DWORD dst_unused:UNUSED_PAD src0_sel:WORD_1 src1_sel:DWORD
	v_mul_f16_sdwa v11, v54, v28 dst_sel:DWORD dst_unused:UNUSED_PAD src0_sel:WORD_1 src1_sel:DWORD
	v_fmac_f16_e32 v52, v55, v25
	v_mul_f16_sdwa v15, v48, v47 dst_sel:DWORD dst_unused:UNUSED_PAD src0_sel:WORD_1 src1_sel:DWORD
	v_mul_f16_sdwa v13, v49, v68 dst_sel:DWORD dst_unused:UNUSED_PAD src0_sel:WORD_1 src1_sel:DWORD
	v_fma_f16 v25, v55, v45, -v1
	v_add_f16_e32 v1, v71, v73
	v_fmac_f16_e32 v42, v54, v28
	v_fma_f16 v28, v54, v44, -v11
	v_mul_f16_sdwa v11, v48, v27 dst_sel:DWORD dst_unused:UNUSED_PAD src0_sel:WORD_1 src1_sel:DWORD
	v_mul_f16_sdwa v12, v49, v14 dst_sel:DWORD dst_unused:UNUSED_PAD src0_sel:WORD_1 src1_sel:DWORD
	v_fmac_f16_e32 v15, v48, v27
	v_fmac_f16_e32 v13, v49, v14
	v_mul_f16_sdwa v17, v50, v69 dst_sel:DWORD dst_unused:UNUSED_PAD src0_sel:WORD_1 src1_sel:DWORD
	v_mul_f16_sdwa v14, v50, v29 dst_sel:DWORD dst_unused:UNUSED_PAD src0_sel:WORD_1 src1_sel:DWORD
	;; [unrolled: 1-line block ×3, first 2 shown]
	v_fma_f16 v1, -0.5, v1, v2
	v_sub_f16_e32 v43, v64, v32
	v_add_f16_e32 v44, v46, v65
	v_fmac_f16_e32 v61, v56, v19
	v_fma_f16 v11, v48, v47, -v11
	v_add_f16_e32 v18, v2, v46
	v_fmac_f16_e32 v17, v50, v29
	v_fma_f16 v16, v50, v69, -v14
	v_fmac_f16_e32 v27, v51, v33
	v_fmamk_f16 v14, v43, 0xbb9c, v1
	v_sub_f16_e32 v29, v30, v31
	v_sub_f16_e32 v19, v46, v71
	;; [unrolled: 1-line block ×3, first 2 shown]
	v_mul_f16_sdwa v33, v51, v33 dst_sel:DWORD dst_unused:UNUSED_PAD src0_sel:WORD_1 src1_sel:DWORD
	v_fma_f16 v2, -0.5, v44, v2
	v_fmac_f16_e32 v1, 0x3b9c, v43
	v_add_f16_e32 v47, v9, v64
	v_fmac_f16_e32 v14, 0xb8b4, v29
	v_add_f16_e32 v45, v19, v20
	v_fma_f16 v20, v51, v70, -v33
	v_fmamk_f16 v19, v29, 0x3b9c, v2
	v_sub_f16_e32 v33, v71, v46
	v_sub_f16_e32 v44, v73, v65
	v_fmac_f16_e32 v1, 0x38b4, v29
	v_add_f16_e32 v48, v30, v31
	v_fmac_f16_e32 v2, 0xbb9c, v29
	v_add_f16_e32 v29, v47, v30
	v_fma_f16 v12, v49, v68, -v12
	v_fmac_f16_e32 v14, 0x34f2, v45
	v_add_f16_e32 v33, v33, v44
	v_fma_f16 v44, -0.5, v48, v9
	v_fmac_f16_e32 v1, 0x34f2, v45
	v_add_f16_e32 v29, v29, v31
	v_add_f16_e32 v45, v64, v32
	v_sub_f16_e32 v48, v64, v30
	v_sub_f16_e32 v49, v32, v31
	;; [unrolled: 1-line block ×6, first 2 shown]
	v_fmac_f16_e32 v9, -0.5, v45
	v_fmac_f16_e32 v19, 0xb8b4, v43
	v_add_f16_e32 v30, v30, v31
	v_add_f16_e32 v31, v3, v66
	v_fmac_f16_e32 v2, 0x38b4, v43
	v_fmamk_f16 v43, v46, 0x3b9c, v44
	v_add_f16_e32 v29, v29, v32
	v_fmac_f16_e32 v44, 0xbb9c, v46
	v_fmamk_f16 v45, v47, 0xbb9c, v9
	v_add_f16_e32 v32, v72, v60
	v_fmac_f16_e32 v9, 0x3b9c, v47
	v_add_f16_e32 v31, v31, v72
	v_add_f16_e32 v51, v66, v67
	v_lshrrev_b32_e32 v8, 16, v3
	v_fmac_f16_e32 v19, 0x34f2, v33
	v_fmac_f16_e32 v2, 0x34f2, v33
	;; [unrolled: 1-line block ×3, first 2 shown]
	v_add_f16_e32 v33, v48, v49
	v_fmac_f16_e32 v44, 0xb8b4, v47
	v_fmac_f16_e32 v45, 0x38b4, v46
	v_fma_f16 v32, -0.5, v32, v3
	v_sub_f16_e32 v48, v34, v37
	v_sub_f16_e32 v47, v35, v36
	;; [unrolled: 1-line block ×4, first 2 shown]
	v_fmac_f16_e32 v9, 0xb8b4, v46
	v_add_f16_e32 v31, v31, v60
	v_fmac_f16_e32 v3, -0.5, v51
	v_fmac_f16_e32 v43, 0x34f2, v33
	v_fmac_f16_e32 v44, 0x34f2, v33
	;; [unrolled: 1-line block ×3, first 2 shown]
	v_fmamk_f16 v33, v48, 0xbb9c, v32
	v_add_f16_e32 v46, v49, v50
	v_fmac_f16_e32 v9, 0x34f2, v30
	v_add_f16_e32 v30, v31, v67
	v_fmac_f16_e32 v32, 0x3b9c, v48
	v_fmamk_f16 v31, v47, 0x3b9c, v3
	v_sub_f16_e32 v49, v72, v66
	v_sub_f16_e32 v50, v60, v67
	v_add_f16_e32 v51, v8, v34
	v_add_f16_e32 v53, v35, v36
	v_fmac_f16_e32 v3, 0xbb9c, v47
	v_fmac_f16_e32 v33, 0xb8b4, v47
	;; [unrolled: 1-line block ×4, first 2 shown]
	v_add_f16_e32 v49, v49, v50
	v_add_f16_e32 v47, v51, v35
	v_fma_f16 v50, -0.5, v53, v8
	v_sub_f16_e32 v51, v66, v67
	v_fmac_f16_e32 v3, 0x38b4, v48
	v_add_f16_e32 v48, v34, v37
	v_sub_f16_e32 v54, v34, v35
	v_sub_f16_e32 v34, v35, v34
	;; [unrolled: 1-line block ×3, first 2 shown]
	v_fmac_f16_e32 v33, 0x34f2, v46
	v_fmac_f16_e32 v32, 0x34f2, v46
	v_add_f16_e32 v46, v47, v36
	v_fmamk_f16 v47, v51, 0x3b9c, v50
	v_sub_f16_e32 v53, v72, v60
	v_sub_f16_e32 v55, v37, v36
	v_fmac_f16_e32 v8, -0.5, v48
	v_fmac_f16_e32 v50, 0xbb9c, v51
	v_add_f16_e32 v36, v62, v63
	v_add_f16_e32 v34, v34, v35
	;; [unrolled: 1-line block ×3, first 2 shown]
	v_lshrrev_b32_e32 v10, 16, v4
	v_fmac_f16_e32 v31, 0x34f2, v49
	v_fmac_f16_e32 v3, 0x34f2, v49
	v_add_f16_e32 v46, v46, v37
	v_fmac_f16_e32 v47, 0x38b4, v53
	v_add_f16_e32 v48, v54, v55
	v_fmamk_f16 v49, v53, 0xbb9c, v8
	v_fmac_f16_e32 v50, 0xb8b4, v53
	v_fma_f16 v36, -0.5, v36, v4
	v_sub_f16_e32 v37, v38, v24
	v_fmac_f16_e32 v8, 0x3b9c, v53
	v_add_f16_e32 v35, v35, v62
	v_add_f16_e32 v56, v61, v21
	v_fmac_f16_e32 v47, 0x34f2, v48
	v_fmac_f16_e32 v49, 0x38b4, v51
	;; [unrolled: 1-line block ×3, first 2 shown]
	v_fmamk_f16 v48, v37, 0xbb9c, v36
	v_sub_f16_e32 v53, v22, v40
	v_sub_f16_e32 v54, v61, v62
	;; [unrolled: 1-line block ×3, first 2 shown]
	v_fmac_f16_e32 v8, 0xb8b4, v51
	v_add_f16_e32 v35, v35, v63
	v_fma_f16 v4, -0.5, v56, v4
	v_fmac_f16_e32 v36, 0x3b9c, v37
	v_add_f16_e32 v56, v10, v38
	v_fmac_f16_e32 v49, 0x34f2, v34
	v_fmac_f16_e32 v48, 0xb8b4, v53
	v_add_f16_e32 v51, v54, v55
	v_fmac_f16_e32 v8, 0x34f2, v34
	v_add_f16_e32 v34, v35, v21
	v_fmamk_f16 v35, v53, 0x3b9c, v4
	v_sub_f16_e32 v54, v62, v61
	v_sub_f16_e32 v55, v63, v21
	v_fmac_f16_e32 v36, 0x38b4, v53
	v_add_f16_e32 v57, v22, v40
	v_fmac_f16_e32 v4, 0xbb9c, v53
	v_add_f16_e32 v53, v56, v22
	;; [unrolled: 2-line block ×3, first 2 shown]
	v_fma_f16 v55, -0.5, v57, v10
	v_sub_f16_e32 v21, v61, v21
	v_fmac_f16_e32 v4, 0x38b4, v37
	v_add_f16_e32 v37, v53, v40
	v_add_f16_e32 v53, v38, v24
	v_fmac_f16_e32 v48, 0x34f2, v51
	v_fmac_f16_e32 v36, 0x34f2, v51
	v_fmamk_f16 v51, v21, 0x3b9c, v55
	v_sub_f16_e32 v56, v62, v63
	v_sub_f16_e32 v57, v38, v22
	;; [unrolled: 1-line block ×3, first 2 shown]
	v_fmac_f16_e32 v10, -0.5, v53
	v_add_f16_e32 v37, v37, v24
	v_fmac_f16_e32 v55, 0xbb9c, v21
	v_sub_f16_e32 v22, v22, v38
	v_sub_f16_e32 v24, v40, v24
	v_add_f16_e32 v38, v41, v42
	v_lshrrev_b32_e32 v7, 16, v5
	v_fmac_f16_e32 v35, 0x34f2, v54
	v_fmac_f16_e32 v4, 0x34f2, v54
	v_fmac_f16_e32 v51, 0x38b4, v56
	v_add_f16_e32 v53, v57, v58
	v_fmamk_f16 v54, v56, 0xbb9c, v10
	v_fmac_f16_e32 v55, 0xb8b4, v56
	v_add_f16_e32 v22, v22, v24
	v_add_f16_e32 v24, v5, v39
	v_fma_f16 v38, -0.5, v38, v5
	v_sub_f16_e32 v40, v26, v25
	v_fmac_f16_e32 v10, 0x3b9c, v56
	v_add_f16_e32 v59, v39, v52
	v_fmac_f16_e32 v51, 0x34f2, v53
	v_fmac_f16_e32 v54, 0x38b4, v21
	;; [unrolled: 1-line block ×3, first 2 shown]
	v_add_f16_e32 v24, v24, v41
	v_fmamk_f16 v53, v40, 0xbb9c, v38
	v_sub_f16_e32 v56, v23, v28
	v_sub_f16_e32 v57, v39, v41
	;; [unrolled: 1-line block ×3, first 2 shown]
	v_fmac_f16_e32 v10, 0xb8b4, v21
	v_fmac_f16_e32 v5, -0.5, v59
	v_fmac_f16_e32 v38, 0x3b9c, v40
	v_add_f16_e32 v59, v7, v26
	v_fmac_f16_e32 v54, 0x34f2, v22
	v_add_f16_e32 v21, v24, v42
	;; [unrolled: 2-line block ×3, first 2 shown]
	v_fmac_f16_e32 v10, 0x34f2, v22
	v_fmamk_f16 v22, v56, 0x3b9c, v5
	v_sub_f16_e32 v57, v41, v39
	v_sub_f16_e32 v58, v42, v52
	v_fmac_f16_e32 v38, 0x38b4, v56
	v_add_f16_e32 v60, v23, v28
	v_fmac_f16_e32 v5, 0xbb9c, v56
	v_add_f16_e32 v56, v59, v23
	v_add_f16_e32 v21, v21, v52
	v_fmac_f16_e32 v53, 0x34f2, v24
	v_add_f16_e32 v57, v57, v58
	v_fma_f16 v58, -0.5, v60, v7
	v_sub_f16_e32 v39, v39, v52
	v_fmac_f16_e32 v38, 0x34f2, v24
	v_add_f16_e32 v24, v56, v28
	v_add_f16_e32 v52, v26, v25
	v_fmac_f16_e32 v22, 0xb8b4, v40
	v_fmac_f16_e32 v5, 0x38b4, v40
	v_fmamk_f16 v40, v39, 0x3b9c, v58
	v_sub_f16_e32 v41, v41, v42
	v_sub_f16_e32 v42, v26, v23
	;; [unrolled: 1-line block ×3, first 2 shown]
	v_fmac_f16_e32 v7, -0.5, v52
	v_add_f16_e32 v24, v24, v25
	v_fmac_f16_e32 v58, 0xbb9c, v39
	v_sub_f16_e32 v23, v23, v26
	v_sub_f16_e32 v25, v28, v25
	v_add_f16_e32 v26, v13, v17
	v_fmac_f16_e32 v40, 0x38b4, v41
	v_add_f16_e32 v42, v42, v56
	v_fmamk_f16 v52, v41, 0xbb9c, v7
	v_fmac_f16_e32 v58, 0xb8b4, v41
	v_add_f16_e32 v23, v23, v25
	v_fmac_f16_e32 v7, 0x3b9c, v41
	v_add_f16_e32 v25, v0, v15
	v_fma_f16 v26, -0.5, v26, v0
	v_sub_f16_e32 v28, v11, v20
	v_fmac_f16_e32 v22, 0x34f2, v57
	v_fmac_f16_e32 v5, 0x34f2, v57
	;; [unrolled: 1-line block ×6, first 2 shown]
	v_add_f16_e32 v25, v25, v13
	v_fmamk_f16 v39, v28, 0xbb9c, v26
	v_sub_f16_e32 v41, v12, v16
	v_sub_f16_e32 v42, v15, v13
	v_sub_f16_e32 v56, v27, v17
	v_fmac_f16_e32 v26, 0x3b9c, v28
	v_add_f16_e32 v57, v15, v27
	v_lshrrev_b32_e32 v6, 16, v0
	v_add_f16_e32 v25, v25, v17
	v_fmac_f16_e32 v39, 0xb8b4, v41
	v_add_f16_e32 v42, v42, v56
	v_fmac_f16_e32 v26, 0x38b4, v41
	v_fmac_f16_e32 v0, -0.5, v57
	v_sub_f16_e32 v56, v13, v15
	v_sub_f16_e32 v57, v17, v27
	v_fmac_f16_e32 v52, 0x34f2, v23
	v_fmac_f16_e32 v7, 0x34f2, v23
	v_add_f16_e32 v23, v25, v27
	v_fmac_f16_e32 v39, 0x34f2, v42
	v_fmac_f16_e32 v26, 0x34f2, v42
	v_fmamk_f16 v25, v41, 0x3b9c, v0
	v_add_f16_e32 v42, v12, v16
	v_fmac_f16_e32 v0, 0xbb9c, v41
	v_sub_f16_e32 v15, v15, v27
	v_add_f16_e32 v27, v56, v57
	v_add_f16_e32 v56, v11, v20
	;; [unrolled: 1-line block ×4, first 2 shown]
	v_fma_f16 v42, -0.5, v42, v6
	v_fmac_f16_e32 v25, 0xb8b4, v28
	v_fmac_f16_e32 v0, 0x38b4, v28
	v_sub_f16_e32 v13, v13, v17
	v_fmac_f16_e32 v6, -0.5, v56
	v_add_f16_e32 v18, v18, v73
	v_add_f16_e32 v28, v41, v12
	v_fmac_f16_e32 v25, 0x34f2, v27
	v_fmac_f16_e32 v0, 0x34f2, v27
	v_sub_f16_e32 v27, v11, v12
	v_fmamk_f16 v56, v13, 0xbb9c, v6
	v_sub_f16_e32 v11, v12, v11
	v_sub_f16_e32 v12, v16, v20
	v_fmac_f16_e32 v6, 0x3b9c, v13
	v_fmamk_f16 v41, v15, 0x3b9c, v42
	v_fmac_f16_e32 v42, 0xbb9c, v15
	v_add_f16_e32 v18, v18, v65
	v_fmac_f16_e32 v56, 0x38b4, v15
	v_add_f16_e32 v11, v11, v12
	v_fmac_f16_e32 v6, 0xb8b4, v15
	v_fmac_f16_e32 v41, 0x38b4, v13
	;; [unrolled: 1-line block ×3, first 2 shown]
	v_pack_b32_f16 v13, v14, v43
	v_add_f16_e32 v17, v28, v16
	v_sub_f16_e32 v28, v20, v16
	v_pack_b32_f16 v14, v19, v45
	v_pack_b32_f16 v2, v2, v9
	;; [unrolled: 1-line block ×3, first 2 shown]
	v_fmac_f16_e32 v56, 0x34f2, v11
	v_fmac_f16_e32 v6, 0x34f2, v11
	v_pack_b32_f16 v11, v18, v29
	v_pack_b32_f16 v9, v30, v46
	ds_write_b32 v113, v13 offset:8960
	ds_write_b32 v113, v14 offset:17920
	;; [unrolled: 1-line block ×4, first 2 shown]
	ds_write2st64_b32 v113, v11, v9 offset1:7
	v_pack_b32_f16 v1, v33, v47
	v_pack_b32_f16 v9, v48, v51
	v_add_f16_e32 v16, v27, v28
	v_pack_b32_f16 v2, v31, v49
	v_pack_b32_f16 v11, v35, v54
	;; [unrolled: 1-line block ×4, first 2 shown]
	v_add_f16_e32 v12, v17, v20
	v_pack_b32_f16 v8, v32, v50
	v_pack_b32_f16 v10, v34, v37
	v_pack_b32_f16 v13, v36, v55
	ds_write2st64_b32 v113, v1, v9 offset0:42 offset1:49
	ds_write2st64_b32 v113, v2, v11 offset0:77 offset1:84
	;; [unrolled: 1-line block ×3, first 2 shown]
	v_pack_b32_f16 v1, v21, v24
	v_pack_b32_f16 v2, v22, v52
	v_fmac_f16_e32 v41, 0x34f2, v16
	v_pack_b32_f16 v3, v5, v7
	v_pack_b32_f16 v4, v38, v58
	v_fmac_f16_e32 v42, 0x34f2, v16
	ds_write2st64_b32 v113, v8, v13 offset0:147 offset1:154
	ds_write2st64_b32 v113, v10, v1 offset0:14 offset1:21
	ds_write_b32 v113, v2 offset:23296
	ds_write_b32 v113, v3 offset:32256
	ds_write_b32 v113, v4 offset:41216
	v_pack_b32_f16 v2, v23, v12
	v_pack_b32_f16 v1, v53, v40
	;; [unrolled: 1-line block ×6, first 2 shown]
	ds_write_b32 v113, v2 offset:7168
	ds_write2st64_b32 v113, v1, v3 offset0:56 offset1:63
	ds_write_b32 v113, v4 offset:25088
	ds_write_b32 v113, v0 offset:34048
	;; [unrolled: 1-line block ×3, first 2 shown]
	s_waitcnt lgkmcnt(0)
	s_barrier
	buffer_gl0_inv
	ds_read2st64_b32 v[5:6], v113 offset1:7
	v_add_nc_u32_e32 v7, 0xc0, v113
	s_waitcnt lgkmcnt(0)
	v_lshrrev_b32_e32 v2, 16, v5
	v_mul_f16_sdwa v3, v137, v5 dst_sel:DWORD dst_unused:UNUSED_PAD src0_sel:WORD_1 src1_sel:DWORD
	v_mul_f16_sdwa v0, v137, v2 dst_sel:DWORD dst_unused:UNUSED_PAD src0_sel:WORD_1 src1_sel:DWORD
	v_fma_f16 v2, v137, v2, -v3
	v_fmac_f16_e32 v0, v137, v5
	v_cvt_f32_f16_e32 v2, v2
	v_cvt_f32_f16_e32 v0, v0
	v_cvt_f64_f32_e32 v[2:3], v2
	v_cvt_f64_f32_e32 v[0:1], v0
	v_mul_f64 v[8:9], v[2:3], s[4:5]
	v_mul_f64 v[4:5], v[0:1], s[4:5]
	ds_read2st64_b32 v[0:1], v7 offset0:43 offset1:50
	v_and_or_b32 v8, 0x1ff, v9, v8
	v_lshrrev_b32_e32 v10, 8, v9
	v_bfe_u32 v13, v9, 20, 11
	s_waitcnt lgkmcnt(0)
	v_lshrrev_b32_e32 v15, 16, v0
	v_and_or_b32 v2, 0x1ff, v5, v4
	v_lshrrev_b32_e32 v3, 8, v5
	v_bfe_u32 v4, v5, 20, 11
	v_add_nc_u32_e32 v21, 0xfffffc10, v13
	v_mul_f16_sdwa v11, v138, v15 dst_sel:DWORD dst_unused:UNUSED_PAD src0_sel:WORD_1 src1_sel:DWORD
	v_cmp_ne_u32_e64 s0, 0, v2
	v_add_nc_u32_e32 v16, 0xfffffc10, v4
	v_cmp_gt_i32_e64 s2, 1, v21
	v_fmac_f16_e32 v11, v138, v0
	v_cndmask_b32_e64 v2, 0, 1, s0
	v_cmp_ne_u32_e64 s0, 0, v8
	v_mul_f16_sdwa v0, v138, v0 dst_sel:DWORD dst_unused:UNUSED_PAD src0_sel:WORD_1 src1_sel:DWORD
	v_and_or_b32 v14, 0xffe, v3, v2
	v_sub_nc_u32_e32 v2, 0x3f1, v4
	v_cndmask_b32_e64 v8, 0, 1, s0
	v_fma_f16 v0, v138, v15, -v0
	v_or_b32_e32 v3, 0x1000, v14
	v_med3_i32 v2, v2, 0, 13
	v_and_or_b32 v8, 0xffe, v10, v8
	v_sub_nc_u32_e32 v10, 0x3f1, v13
	v_lshl_or_b32 v18, v16, 12, v14
	v_cvt_f32_f16_e32 v0, v0
	v_lshrrev_b32_e32 v12, v2, v3
	v_or_b32_e32 v17, 0x1000, v8
	v_med3_i32 v4, v10, 0, 13
	v_lshlrev_b32_e32 v2, v2, v12
	v_lshrrev_b32_e32 v19, v4, v17
	v_cmp_ne_u32_e64 s0, v2, v3
	v_cvt_f32_f16_e32 v3, v11
	v_mad_u64_u32 v[10:11], null, s10, v84, 0
	v_cndmask_b32_e64 v2, 0, 1, s0
	v_cmp_gt_i32_e64 s0, 1, v16
	v_or_b32_e32 v12, v12, v2
	v_cvt_f64_f32_e32 v[2:3], v3
	v_cndmask_b32_e64 v18, v18, v12, s0
	v_lshlrev_b32_e32 v12, v4, v19
	v_mov_b32_e32 v4, v11
	v_and_b32_e32 v20, 7, v18
	v_cmp_ne_u32_e64 s0, v12, v17
	v_mad_u64_u32 v[11:12], null, s11, v84, v[4:5]
	v_cmp_eq_u32_e64 s1, 3, v20
	v_cndmask_b32_e64 v17, 0, 1, s0
	v_cmp_lt_i32_e64 s0, 5, v20
	v_or_b32_e32 v4, v19, v17
	v_lshl_or_b32 v17, v21, 12, v8
	v_mul_f64 v[12:13], v[2:3], s[4:5]
	v_lshrrev_b32_e32 v2, 2, v18
	s_or_b32 s0, s1, s0
	v_lshrrev_b32_e32 v19, 16, v5
	v_cndmask_b32_e64 v4, v17, v4, s2
	v_cmp_eq_u32_e64 s2, 0x40f, v16
	v_add_co_ci_u32_e64 v2, s0, 0, v2, s0
	v_cmp_ne_u32_e64 s0, 0, v14
	v_and_b32_e32 v14, 7, v4
	v_cndmask_b32_e64 v3, 0, 1, s0
	v_cmp_gt_i32_e64 s0, 31, v16
	v_cmp_eq_u32_e64 s1, 3, v14
	v_lshl_or_b32 v17, v3, 9, 0x7c00
	v_cndmask_b32_e64 v15, 0x7c00, v2, s0
	v_cmp_lt_i32_e64 s0, 5, v14
	v_cvt_f64_f32_e32 v[2:3], v0
	v_lshrrev_b32_e32 v0, 2, v4
	v_and_or_b32 v4, 0x1ff, v13, v12
	v_cndmask_b32_e64 v18, v15, v17, s2
	s_or_b32 s0, s1, s0
	v_lshrrev_b32_e32 v15, 8, v13
	v_add_co_ci_u32_e64 v0, s0, 0, v0, s0
	v_cmp_ne_u32_e64 s0, 0, v8
	v_bfe_u32 v20, v13, 20, 11
	v_add_nc_u32_e32 v8, 0x80, v113
	v_lshrrev_b32_e32 v13, 16, v13
	v_cndmask_b32_e64 v12, 0, 1, s0
	v_cmp_ne_u32_e64 s0, 0, v4
	v_mad_u64_u32 v[4:5], null, s8, v135, 0
	v_sub_nc_u32_e32 v16, 0x3f1, v20
	v_lshl_or_b32 v12, v12, 9, 0x7c00
	v_cndmask_b32_e64 v14, 0, 1, s0
	v_cmp_gt_i32_e64 s0, 31, v21
	v_add_nc_u32_e32 v20, 0xfffffc10, v20
	v_and_or_b32 v22, 0xffe, v15, v14
	v_mul_f64 v[14:15], v[2:3], s[4:5]
	ds_read2st64_b32 v[2:3], v8 offset0:87 offset1:94
	v_cndmask_b32_e64 v17, 0x7c00, v0, s0
	v_mov_b32_e32 v0, v5
	v_or_b32_e32 v23, 0x1000, v22
	v_med3_i32 v5, v16, 0, 13
	v_cmp_eq_u32_e64 s0, 0x40f, v21
	v_cndmask_b32_e64 v12, v17, v12, s0
	v_mad_u64_u32 v[16:17], null, s9, v135, v[0:1]
	v_lshrrev_b32_e32 v0, 16, v9
	v_lshrrev_b32_e32 v9, v5, v23
	v_and_or_b32 v17, 0x8000, v19, v18
	v_and_or_b32 v0, 0x8000, v0, v12
	v_lshlrev_b32_e32 v12, v5, v9
	v_mov_b32_e32 v5, v16
	v_and_b32_e32 v16, 0xffff, v17
	s_waitcnt lgkmcnt(0)
	v_lshrrev_b32_e32 v17, 16, v2
	v_and_or_b32 v14, 0x1ff, v15, v14
	v_cmp_ne_u32_e64 s0, v12, v23
	v_lshrrev_b32_e32 v19, 8, v15
	v_bfe_u32 v21, v15, 20, 11
	v_mul_f16_sdwa v18, v136, v17 dst_sel:DWORD dst_unused:UNUSED_PAD src0_sel:WORD_1 src1_sel:DWORD
	v_lshl_or_b32 v0, v0, 16, v16
	v_cndmask_b32_e64 v12, 0, 1, s0
	v_cmp_ne_u32_e64 s0, 0, v14
	v_lshlrev_b64 v[4:5], 2, v[4:5]
	v_fmac_f16_e32 v18, v136, v2
	v_mul_f16_sdwa v2, v136, v2 dst_sel:DWORD dst_unused:UNUSED_PAD src0_sel:WORD_1 src1_sel:DWORD
	v_or_b32_e32 v9, v9, v12
	v_cndmask_b32_e64 v14, 0, 1, s0
	v_lshl_or_b32 v12, v20, 12, v22
	v_cvt_f32_f16_e32 v18, v18
	v_cmp_gt_i32_e64 s0, 1, v20
	v_fma_f16 v2, v136, v17, -v2
	v_and_or_b32 v14, 0xffe, v19, v14
	v_sub_nc_u32_e32 v19, 0x3f1, v21
	v_add_nc_u32_e32 v21, 0xfffffc10, v21
	v_cndmask_b32_e64 v23, v12, v9, s0
	v_lshlrev_b64 v[9:10], 2, v[10:11]
	v_or_b32_e32 v24, 0x1000, v14
	v_med3_i32 v19, v19, 0, 13
	v_cvt_f64_f32_e32 v[11:12], v18
	v_and_b32_e32 v16, 7, v23
	v_cvt_f32_f16_e32 v2, v2
	v_add_co_u32 v9, s0, s6, v9
	v_lshrrev_b32_e32 v18, v19, v24
	v_add_co_ci_u32_e64 v25, s0, s7, v10, s0
	v_cmp_lt_i32_e64 s0, 5, v16
	v_cmp_eq_u32_e64 s1, 3, v16
	v_lshlrev_b32_e32 v10, v19, v18
	v_lshrrev_b32_e32 v16, 2, v23
	v_lshrrev_b32_e32 v15, 16, v15
	s_or_b32 s0, s1, s0
	v_cmp_ne_u32_e64 s2, v10, v24
	v_add_co_ci_u32_e64 v23, s0, 0, v16, s0
	v_cmp_ne_u32_e64 s0, 0, v22
	v_cndmask_b32_e64 v17, 0, 1, s2
	v_mul_f64 v[10:11], v[11:12], s[4:5]
	v_or_b32_e32 v12, v18, v17
	v_cvt_f64_f32_e32 v[16:17], v2
	v_lshl_or_b32 v18, v21, 12, v14
	v_cndmask_b32_e64 v2, 0, 1, s0
	v_cmp_gt_i32_e64 s0, 1, v21
	v_lshl_or_b32 v2, v2, 9, 0x7c00
	v_cndmask_b32_e64 v12, v18, v12, s0
	v_add_co_u32 v18, s0, v9, v4
	v_add_co_ci_u32_e64 v19, s0, v25, v5, s0
	v_cmp_gt_i32_e64 s0, 31, v20
	v_and_b32_e32 v5, 7, v12
	v_add_nc_u32_e32 v9, 64, v113
	global_store_dword v[18:19], v0, off
	v_cndmask_b32_e64 v4, 0x7c00, v23, s0
	v_cmp_eq_u32_e64 s0, 0x40f, v20
	v_cmp_eq_u32_e64 s1, 3, v5
	v_bfe_u32 v20, v11, 20, 11
	v_mul_f64 v[16:17], v[16:17], s[4:5]
	v_lshrrev_b32_e32 v26, 16, v11
	v_cndmask_b32_e64 v0, v4, v2, s0
	v_and_or_b32 v2, 0x1ff, v11, v10
	v_cmp_lt_i32_e64 s0, 5, v5
	v_lshrrev_b32_e32 v10, 2, v12
	ds_read2st64_b32 v[4:5], v9 offset0:131 offset1:138
	v_lshrrev_b32_e32 v12, 8, v11
	v_cmp_ne_u32_e64 s2, 0, v2
	s_or_b32 s0, s1, s0
	v_and_or_b32 v0, 0x8000, v13, v0
	v_add_co_ci_u32_e64 v10, s0, 0, v10, s0
	v_cndmask_b32_e64 v2, 0, 1, s2
	v_cmp_ne_u32_e64 s0, 0, v14
	s_mul_i32 s1, s9, 0xaf0
	s_mul_hi_u32 s2, s8, 0xaf0
	v_and_b32_e32 v0, 0xffff, v0
	v_and_or_b32 v2, 0xffe, v12, v2
	v_cndmask_b32_e64 v14, 0, 1, s0
	v_sub_nc_u32_e32 v12, 0x3f1, v20
	v_cmp_gt_i32_e64 s0, 31, v21
	v_and_or_b32 v16, 0x1ff, v17, v16
	v_or_b32_e32 v22, 0x1000, v2
	v_lshl_or_b32 v14, v14, 9, 0x7c00
	v_med3_i32 v12, v12, 0, 13
	v_cndmask_b32_e64 v10, 0x7c00, v10, s0
	v_cmp_eq_u32_e64 s0, 0x40f, v21
	v_bfe_u32 v23, v17, 20, 11
	v_add_nc_u32_e32 v20, 0xfffffc10, v20
	v_lshrrev_b32_e32 v21, v12, v22
	s_add_i32 s3, s2, s1
	v_cndmask_b32_e64 v10, v10, v14, s0
	s_waitcnt lgkmcnt(0)
	v_lshrrev_b32_e32 v14, 16, v4
	v_cmp_ne_u32_e64 s0, 0, v16
	v_lshlrev_b32_e32 v12, v12, v21
	v_lshrrev_b32_e32 v16, 8, v17
	v_and_or_b32 v10, 0x8000, v15, v10
	v_mul_f16_sdwa v13, v134, v14 dst_sel:DWORD dst_unused:UNUSED_PAD src0_sel:WORD_1 src1_sel:DWORD
	v_cndmask_b32_e64 v15, 0, 1, s0
	v_cmp_ne_u32_e64 s0, v12, v22
	v_lshl_or_b32 v22, v20, 12, v2
	v_lshl_or_b32 v0, v10, 16, v0
	v_fmac_f16_e32 v13, v134, v4
	v_and_or_b32 v16, 0xffe, v16, v15
	v_cndmask_b32_e64 v12, 0, 1, s0
	v_sub_nc_u32_e32 v15, 0x3f1, v23
	v_cmp_gt_i32_e64 s0, 1, v20
	v_cvt_f32_f16_e32 v13, v13
	v_or_b32_e32 v24, 0x1000, v16
	v_or_b32_e32 v21, v21, v12
	v_med3_i32 v15, v15, 0, 13
	v_mul_f16_sdwa v4, v134, v4 dst_sel:DWORD dst_unused:UNUSED_PAD src0_sel:WORD_1 src1_sel:DWORD
	v_cvt_f64_f32_e32 v[12:13], v13
	v_add_nc_u32_e32 v23, 0xfffffc10, v23
	v_cndmask_b32_e64 v21, v22, v21, s0
	v_lshrrev_b32_e32 v22, v15, v24
	v_fma_f16 v4, v134, v14, -v4
	s_mul_i32 s2, s8, 0xaf0
	v_and_b32_e32 v25, 7, v21
	v_lshlrev_b32_e32 v15, v15, v22
	v_cvt_f32_f16_e32 v4, v4
	v_lshrrev_b32_e32 v21, 2, v21
	s_lshl_b64 s[6:7], s[2:3], 2
	v_cmp_lt_i32_e64 s0, 5, v25
	v_cmp_ne_u32_e64 s1, v15, v24
	v_cvt_f64_f32_e32 v[14:15], v4
	v_lshl_or_b32 v4, v23, 12, v16
	v_cndmask_b32_e64 v10, 0, 1, s1
	v_cmp_eq_u32_e64 s1, 3, v25
	v_mul_f64 v[12:13], v[12:13], s[4:5]
	v_or_b32_e32 v10, v22, v10
	s_or_b32 s0, s1, s0
	v_lshrrev_b32_e32 v22, 16, v6
	v_add_co_ci_u32_e64 v21, s0, 0, v21, s0
	v_cmp_ne_u32_e64 s0, 0, v2
	v_cndmask_b32_e64 v2, 0, 1, s0
	v_cmp_gt_i32_e64 s0, 1, v23
	v_mul_f64 v[14:15], v[14:15], s[4:5]
	v_lshl_or_b32 v2, v2, 9, 0x7c00
	v_cndmask_b32_e64 v4, v4, v10, s0
	v_cmp_gt_i32_e64 s0, 31, v20
	v_and_or_b32 v12, 0x1ff, v13, v12
	v_cndmask_b32_e64 v10, 0x7c00, v21, s0
	v_add_co_u32 v18, s0, v18, s6
	v_add_co_ci_u32_e64 v19, s0, s7, v19, s0
	v_cmp_eq_u32_e64 s0, 0x40f, v20
	v_cmp_ne_u32_e64 s1, 0, v12
	v_and_b32_e32 v21, 7, v4
	v_lshrrev_b32_e32 v12, 8, v13
	v_bfe_u32 v20, v13, 20, 11
	v_cndmask_b32_e64 v2, v10, v2, s0
	v_cndmask_b32_e64 v10, 0, 1, s1
	v_cmp_lt_i32_e64 s0, 5, v21
	v_cmp_eq_u32_e64 s1, 3, v21
	v_lshrrev_b32_e32 v4, 2, v4
	v_mul_f16_sdwa v21, v133, v22 dst_sel:DWORD dst_unused:UNUSED_PAD src0_sel:WORD_1 src1_sel:DWORD
	v_and_or_b32 v12, 0xffe, v12, v10
	v_sub_nc_u32_e32 v10, 0x3f1, v20
	s_or_b32 s0, s1, s0
	v_and_or_b32 v14, 0x1ff, v15, v14
	v_add_co_ci_u32_e64 v4, s0, 0, v4, s0
	v_or_b32_e32 v24, 0x1000, v12
	v_fmac_f16_e32 v21, v133, v6
	v_med3_i32 v25, v10, 0, 13
	v_cmp_gt_i32_e64 s0, 31, v23
	v_lshrrev_b32_e32 v27, 8, v15
	v_bfe_u32 v28, v15, 20, 11
	v_cvt_f32_f16_e32 v10, v21
	v_lshrrev_b32_e32 v21, v25, v24
	v_cndmask_b32_e64 v4, 0x7c00, v4, s0
	v_cmp_ne_u32_e64 s0, 0, v16
	v_add_nc_u32_e32 v20, 0xfffffc10, v20
	v_cvt_f64_f32_e32 v[10:11], v10
	v_lshlrev_b32_e32 v25, v25, v21
	v_mul_f16_sdwa v6, v133, v6 dst_sel:DWORD dst_unused:UNUSED_PAD src0_sel:WORD_1 src1_sel:DWORD
	v_cndmask_b32_e64 v16, 0, 1, s0
	v_cmp_ne_u32_e64 s0, 0, v14
	v_cmp_eq_u32_e64 s2, 0x40f, v20
	v_and_or_b32 v2, 0x8000, v26, v2
	v_fma_f16 v6, v133, v22, -v6
	v_lshl_or_b32 v16, v16, 9, 0x7c00
	v_cndmask_b32_e64 v14, 0, 1, s0
	v_cmp_ne_u32_e64 s0, v25, v24
	v_sub_nc_u32_e32 v25, 0x3f1, v28
	v_cvt_f32_f16_e32 v6, v6
	v_add_nc_u32_e32 v22, 0xfffffc10, v28
	v_and_or_b32 v14, 0xffe, v27, v14
	v_cndmask_b32_e64 v24, 0, 1, s0
	v_cmp_eq_u32_e64 s0, 0x40f, v23
	v_med3_i32 v25, v25, 0, 13
	v_and_b32_e32 v2, 0xffff, v2
	v_or_b32_e32 v27, 0x1000, v14
	v_or_b32_e32 v21, v21, v24
	v_lshl_or_b32 v24, v20, 12, v12
	v_cndmask_b32_e64 v4, v4, v16, s0
	v_cmp_gt_i32_e64 s0, 1, v20
	v_lshrrev_b32_e32 v16, 16, v17
	v_mul_f64 v[10:11], v[10:11], s[4:5]
	v_lshrrev_b32_e32 v13, 16, v13
	v_cndmask_b32_e64 v17, v24, v21, s0
	v_lshrrev_b32_e32 v21, v25, v27
	v_and_or_b32 v4, 0x8000, v16, v4
	v_and_b32_e32 v23, 7, v17
	v_lshlrev_b32_e32 v24, v25, v21
	v_lshl_or_b32 v2, v4, 16, v2
	v_cmp_lt_i32_e64 s0, 5, v23
	v_cmp_ne_u32_e64 s1, v24, v27
	v_cndmask_b32_e64 v16, 0, 1, s1
	v_cmp_eq_u32_e64 s1, 3, v23
	v_lshrrev_b32_e32 v23, 2, v17
	v_and_or_b32 v10, 0x1ff, v11, v10
	v_lshrrev_b32_e32 v24, 8, v11
	v_or_b32_e32 v21, v21, v16
	s_or_b32 s0, s1, s0
	v_cvt_f64_f32_e32 v[16:17], v6
	v_add_co_ci_u32_e64 v23, s0, 0, v23, s0
	v_lshl_or_b32 v6, v22, 12, v14
	v_cmp_gt_i32_e64 s0, 1, v22
	v_bfe_u32 v25, v11, 20, 11
	v_cndmask_b32_e64 v6, v6, v21, s0
	v_cmp_gt_i32_e64 s0, 31, v20
	v_cndmask_b32_e64 v21, 0x7c00, v23, s0
	v_cmp_ne_u32_e64 s0, 0, v12
	v_and_b32_e32 v23, 7, v6
	v_lshrrev_b32_e32 v6, 2, v6
	v_cndmask_b32_e64 v12, 0, 1, s0
	v_cmp_ne_u32_e64 s0, 0, v10
	v_cmp_eq_u32_e64 s1, 3, v23
	v_mul_f64 v[16:17], v[16:17], s[4:5]
	v_lshl_or_b32 v12, v12, 9, 0x7c00
	v_cndmask_b32_e64 v10, 0, 1, s0
	v_cmp_lt_i32_e64 s0, 5, v23
	v_sub_nc_u32_e32 v23, 0x3f1, v25
	v_cndmask_b32_e64 v12, v21, v12, s2
	v_and_or_b32 v10, 0xffe, v24, v10
	s_or_b32 s0, s1, s0
	v_med3_i32 v21, v23, 0, 13
	v_add_co_ci_u32_e64 v6, s0, 0, v6, s0
	v_or_b32_e32 v20, 0x1000, v10
	v_cmp_ne_u32_e64 s0, 0, v14
	v_and_or_b32 v4, 0x8000, v13, v12
	v_lshrrev_b32_e32 v23, v21, v20
	v_cndmask_b32_e64 v14, 0, 1, s0
	v_cmp_gt_i32_e64 s0, 31, v22
	v_and_b32_e32 v4, 0xffff, v4
	v_and_or_b32 v13, 0x1ff, v17, v16
	v_lshlrev_b32_e32 v12, v21, v23
	v_lshl_or_b32 v14, v14, 9, 0x7c00
	v_cndmask_b32_e64 v6, 0x7c00, v6, s0
	v_cmp_eq_u32_e64 s0, 0x40f, v22
	v_lshrrev_b32_e32 v22, 16, v1
	v_lshrrev_b32_e32 v21, 16, v15
	;; [unrolled: 1-line block ×3, first 2 shown]
	v_add_nc_u32_e32 v16, 0xfffffc10, v25
	v_cndmask_b32_e64 v6, v6, v14, s0
	v_cmp_ne_u32_e64 s0, v12, v20
	v_mul_f16_sdwa v14, v132, v22 dst_sel:DWORD dst_unused:UNUSED_PAD src0_sel:WORD_1 src1_sel:DWORD
	v_bfe_u32 v20, v17, 20, 11
	v_and_or_b32 v6, 0x8000, v21, v6
	v_cndmask_b32_e64 v12, 0, 1, s0
	v_cmp_ne_u32_e64 s0, 0, v13
	v_fmac_f16_e32 v14, v132, v1
	v_or_b32_e32 v12, v23, v12
	v_cndmask_b32_e64 v13, 0, 1, s0
	v_lshl_or_b32 v23, v16, 12, v10
	v_cvt_f32_f16_e32 v14, v14
	v_cmp_gt_i32_e64 s0, 1, v16
	v_and_or_b32 v24, 0xffe, v15, v13
	v_sub_nc_u32_e32 v13, 0x3f1, v20
	v_cndmask_b32_e64 v23, v23, v12, s0
	v_or_b32_e32 v25, 0x1000, v24
	v_med3_i32 v26, v13, 0, 13
	v_cvt_f64_f32_e32 v[12:13], v14
	v_add_co_u32 v14, s0, v18, s6
	v_add_co_ci_u32_e64 v15, s0, s7, v19, s0
	v_lshrrev_b32_e32 v21, v26, v25
	v_and_b32_e32 v27, 7, v23
	global_store_dword v[18:19], v0, off
	global_store_dword v[14:15], v2, off
	v_lshl_or_b32 v2, v6, 16, v4
	v_lshrrev_b32_e32 v4, 2, v23
	v_lshlrev_b32_e32 v0, v26, v21
	v_cmp_lt_i32_e64 s0, 5, v27
	v_cmp_eq_u32_e64 s1, 3, v27
	v_add_nc_u32_e32 v6, 0xfffffc10, v20
	v_mul_f16_sdwa v18, v132, v1 dst_sel:DWORD dst_unused:UNUSED_PAD src0_sel:WORD_1 src1_sel:DWORD
	v_cmp_ne_u32_e64 s2, v0, v25
	s_or_b32 s0, s1, s0
	v_lshl_or_b32 v20, v6, 12, v24
	v_add_co_ci_u32_e64 v4, s0, 0, v4, s0
	v_cndmask_b32_e64 v0, 0, 1, s2
	v_cmp_ne_u32_e64 s0, 0, v10
	s_mul_i32 s2, s8, 0xffffe0f0
	v_or_b32_e32 v19, v21, v0
	v_mul_f64 v[0:1], v[12:13], s[4:5]
	v_cndmask_b32_e64 v10, 0, 1, s0
	v_cmp_gt_i32_e64 s0, 1, v6
	v_fma_f16 v12, v132, v22, -v18
	v_mul_f16_sdwa v21, v131, v3 dst_sel:DWORD dst_unused:UNUSED_PAD src0_sel:WORD_1 src1_sel:DWORD
	v_lshl_or_b32 v10, v10, 9, 0x7c00
	v_cndmask_b32_e64 v18, v20, v19, s0
	v_cmp_gt_i32_e64 s0, 31, v16
	v_cvt_f32_f16_e32 v12, v12
	v_and_b32_e32 v19, 7, v18
	v_cndmask_b32_e64 v4, 0x7c00, v4, s0
	v_add_co_u32 v14, s0, v14, s6
	v_cvt_f64_f32_e32 v[12:13], v12
	v_add_co_ci_u32_e64 v15, s0, s7, v15, s0
	v_cmp_eq_u32_e64 s0, 0x40f, v16
	v_cmp_eq_u32_e64 s1, 3, v19
	global_store_dword v[14:15], v2, off
	v_lshrrev_b32_e32 v2, 2, v18
	v_cndmask_b32_e64 v4, v4, v10, s0
	v_cmp_lt_i32_e64 s0, 5, v19
	v_and_or_b32 v0, 0x1ff, v1, v0
	v_lshrrev_b32_e32 v10, 16, v11
	v_lshrrev_b32_e32 v16, 8, v1
	v_bfe_u32 v18, v1, 20, 11
	s_or_b32 s0, s1, s0
	s_mul_i32 s1, s9, 0xffffe0f0
	v_add_co_ci_u32_e64 v2, s0, 0, v2, s0
	v_cmp_ne_u32_e64 s0, 0, v0
	v_and_or_b32 v4, 0x8000, v10, v4
	v_lshrrev_b32_e32 v1, 16, v1
	v_mul_f64 v[10:11], v[12:13], s[4:5]
	v_cndmask_b32_e64 v0, 0, 1, s0
	v_cmp_ne_u32_e64 s0, 0, v24
	v_sub_nc_u32_e32 v12, 0x3f1, v18
	v_add_nc_u32_e32 v18, 0xfffffc10, v18
	v_and_b32_e32 v4, 0xffff, v4
	v_and_or_b32 v0, 0xffe, v16, v0
	v_cndmask_b32_e64 v19, 0, 1, s0
	v_lshrrev_b32_e32 v16, 16, v3
	v_cmp_gt_i32_e64 s0, 31, v6
	v_med3_i32 v12, v12, 0, 13
	v_lshl_or_b32 v13, v19, 9, 0x7c00
	v_or_b32_e32 v19, 0x1000, v0
	v_mul_f16_sdwa v20, v131, v16 dst_sel:DWORD dst_unused:UNUSED_PAD src0_sel:WORD_1 src1_sel:DWORD
	v_cndmask_b32_e64 v2, 0x7c00, v2, s0
	v_cmp_eq_u32_e64 s0, 0x40f, v6
	v_lshrrev_b32_e32 v6, 16, v17
	v_lshrrev_b32_e32 v17, v12, v19
	v_fmac_f16_e32 v20, v131, v3
	v_fma_f16 v16, v131, v16, -v21
	v_cndmask_b32_e64 v2, v2, v13, s0
	s_mul_hi_u32 s0, s8, 0xffffe0f0
	v_lshrrev_b32_e32 v21, 16, v5
	v_cvt_f32_f16_e32 v13, v20
	v_lshlrev_b32_e32 v20, v12, v17
	s_sub_i32 s0, s0, s8
	v_and_or_b32 v2, 0x8000, v6, v2
	s_add_i32 s3, s0, s1
	v_and_or_b32 v6, 0x1ff, v11, v10
	v_cmp_ne_u32_e64 s0, v20, v19
	v_cvt_f64_f32_e32 v[12:13], v13
	v_lshrrev_b32_e32 v19, 8, v11
	v_bfe_u32 v20, v11, 20, 11
	s_lshl_b64 s[8:9], s[2:3], 2
	v_cndmask_b32_e64 v10, 0, 1, s0
	v_cmp_ne_u32_e64 s0, 0, v6
	v_lshl_or_b32 v4, v2, 16, v4
	v_lshrrev_b32_e32 v11, 16, v11
	v_or_b32_e32 v10, v17, v10
	v_cndmask_b32_e64 v6, 0, 1, s0
	v_lshl_or_b32 v17, v18, 12, v0
	v_cmp_gt_i32_e64 s0, 1, v18
	v_and_or_b32 v6, 0xffe, v19, v6
	v_sub_nc_u32_e32 v19, 0x3f1, v20
	v_cndmask_b32_e64 v10, v17, v10, s0
	v_or_b32_e32 v17, 0x1000, v6
	v_med3_i32 v19, v19, 0, 13
	v_and_b32_e32 v22, 7, v10
	v_mul_f64 v[2:3], v[12:13], s[4:5]
	v_add_co_u32 v12, s0, v14, s8
	v_lshrrev_b32_e32 v23, v19, v17
	v_add_co_ci_u32_e64 v13, s0, s9, v15, s0
	v_cmp_lt_i32_e64 s0, 5, v22
	v_cmp_eq_u32_e64 s1, 3, v22
	v_lshrrev_b32_e32 v10, 2, v10
	v_lshlrev_b32_e32 v14, v19, v23
	v_cvt_f32_f16_e32 v15, v16
	global_store_dword v[12:13], v4, off
	s_or_b32 s0, s1, s0
	v_add_co_ci_u32_e64 v10, s0, 0, v10, s0
	v_cmp_ne_u32_e64 s2, v14, v17
	v_cmp_ne_u32_e64 s0, 0, v0
	v_cvt_f64_f32_e32 v[14:15], v15
	v_add_nc_u32_e32 v17, 0xfffffc10, v20
	v_cndmask_b32_e64 v16, 0, 1, s2
	v_cndmask_b32_e64 v0, 0, 1, s0
	v_cmp_gt_i32_e64 s0, 31, v18
	v_lshl_or_b32 v19, v17, 12, v6
	v_and_or_b32 v2, 0x1ff, v3, v2
	v_or_b32_e32 v16, v23, v16
	v_lshl_or_b32 v0, v0, 9, 0x7c00
	v_cndmask_b32_e64 v10, 0x7c00, v10, s0
	v_cmp_gt_i32_e64 s0, 1, v17
	v_bfe_u32 v20, v3, 20, 11
	v_cndmask_b32_e64 v16, v19, v16, s0
	v_cmp_ne_u32_e64 s0, 0, v2
	v_lshrrev_b32_e32 v19, 8, v3
	v_cndmask_b32_e64 v2, 0, 1, s0
	v_cmp_eq_u32_e64 s0, 0x40f, v18
	v_mul_f64 v[14:15], v[14:15], s[4:5]
	v_sub_nc_u32_e32 v18, 0x3f1, v20
	v_add_nc_u32_e32 v20, 0xfffffc10, v20
	v_and_or_b32 v2, 0xffe, v19, v2
	v_cndmask_b32_e64 v0, v10, v0, s0
	v_and_b32_e32 v10, 7, v16
	v_med3_i32 v18, v18, 0, 13
	v_or_b32_e32 v19, 0x1000, v2
	v_cmp_lt_i32_e64 s0, 5, v10
	v_cmp_eq_u32_e64 s1, 3, v10
	v_and_or_b32 v10, 0x8000, v1, v0
	v_lshrrev_b32_e32 v0, 2, v16
	v_lshrrev_b32_e32 v16, v18, v19
	v_mul_f16_sdwa v1, v130, v21 dst_sel:DWORD dst_unused:UNUSED_PAD src0_sel:WORD_1 src1_sel:DWORD
	s_or_b32 s0, s1, s0
	v_add_co_ci_u32_e64 v0, s0, 0, v0, s0
	v_cmp_ne_u32_e64 s0, 0, v6
	v_lshlrev_b32_e32 v18, v18, v16
	v_fmac_f16_e32 v1, v130, v5
	v_and_or_b32 v14, 0x1ff, v15, v14
	v_bfe_u32 v23, v15, 20, 11
	v_cndmask_b32_e64 v6, 0, 1, s0
	v_cmp_gt_i32_e64 s0, 31, v17
	v_lshl_or_b32 v6, v6, 9, 0x7c00
	v_cndmask_b32_e64 v22, 0x7c00, v0, s0
	v_cmp_ne_u32_e64 s0, v18, v19
	v_cvt_f32_f16_e32 v0, v1
	v_lshrrev_b32_e32 v19, 8, v15
	v_cndmask_b32_e64 v18, 0, 1, s0
	v_cmp_ne_u32_e64 s0, 0, v14
	v_cvt_f64_f32_e32 v[0:1], v0
	v_or_b32_e32 v16, v16, v18
	v_cndmask_b32_e64 v14, 0, 1, s0
	v_cmp_eq_u32_e64 s0, 0x40f, v17
	v_sub_nc_u32_e32 v17, 0x3f1, v23
	v_lshl_or_b32 v18, v20, 12, v2
	v_and_or_b32 v14, 0xffe, v19, v14
	v_cndmask_b32_e64 v6, v22, v6, s0
	v_cmp_gt_i32_e64 s0, 1, v20
	v_med3_i32 v17, v17, 0, 13
	v_or_b32_e32 v19, 0x1000, v14
	v_and_or_b32 v4, 0x8000, v11, v6
	v_cndmask_b32_e64 v16, v18, v16, s0
	v_and_b32_e32 v6, 0xffff, v10
	v_lshrrev_b32_e32 v18, v17, v19
	v_and_b32_e32 v22, 7, v16
	v_mul_f64 v[10:11], v[0:1], s[4:5]
	v_mul_f16_sdwa v0, v130, v5 dst_sel:DWORD dst_unused:UNUSED_PAD src0_sel:WORD_1 src1_sel:DWORD
	v_lshlrev_b32_e32 v1, v17, v18
	v_lshl_or_b32 v24, v4, 16, v6
	v_cmp_lt_i32_e64 s0, 5, v22
	v_cmp_eq_u32_e64 s1, 3, v22
	v_fma_f16 v0, v130, v21, -v0
	v_lshrrev_b32_e32 v4, 2, v16
	v_cmp_ne_u32_e64 s2, v1, v19
	v_add_nc_u32_e32 v6, 0xfffffc10, v23
	s_or_b32 s0, s1, s0
	v_cvt_f32_f16_e32 v0, v0
	v_add_co_ci_u32_e64 v16, s0, 0, v4, s0
	v_cndmask_b32_e64 v1, 0, 1, s2
	v_cmp_ne_u32_e64 s0, 0, v2
	v_cvt_f64_f32_e32 v[4:5], v0
	v_lshl_or_b32 v17, v6, 12, v14
	v_or_b32_e32 v1, v18, v1
	v_cndmask_b32_e64 v2, 0, 1, s0
	v_cmp_gt_i32_e64 s0, 1, v6
	v_and_or_b32 v10, 0x1ff, v11, v10
	v_lshrrev_b32_e32 v19, 8, v11
	v_bfe_u32 v21, v11, 20, 11
	v_lshl_or_b32 v2, v2, 9, 0x7c00
	v_cndmask_b32_e64 v17, v17, v1, s0
	v_cmp_gt_i32_e64 s0, 31, v20
	ds_read2st64_b32 v[0:1], v113 offset0:14 offset1:21
	v_and_b32_e32 v18, 7, v17
	v_cndmask_b32_e64 v16, 0x7c00, v16, s0
	v_cmp_ne_u32_e64 s0, 0, v10
	v_cmp_eq_u32_e64 s1, 3, v18
	v_cndmask_b32_e64 v10, 0, 1, s0
	v_cmp_eq_u32_e64 s0, 0x40f, v20
	v_and_or_b32 v10, 0xffe, v19, v10
	v_cndmask_b32_e64 v2, v16, v2, s0
	v_cmp_lt_i32_e64 s0, 5, v18
	v_lshrrev_b32_e32 v16, 16, v3
	v_mul_f64 v[3:4], v[4:5], s[4:5]
	v_lshrrev_b32_e32 v5, 2, v17
	v_sub_nc_u32_e32 v19, 0x3f1, v21
	s_or_b32 s0, s1, s0
	v_or_b32_e32 v17, 0x1000, v10
	v_and_or_b32 v16, 0x8000, v16, v2
	v_add_co_ci_u32_e64 v5, s0, 0, v5, s0
	v_med3_i32 v18, v19, 0, 13
	v_cmp_ne_u32_e64 s0, 0, v14
	s_waitcnt lgkmcnt(0)
	v_lshrrev_b32_e32 v19, 16, v0
	v_lshrrev_b32_e32 v20, v18, v17
	v_cndmask_b32_e64 v14, 0, 1, s0
	v_cmp_gt_i32_e64 s0, 31, v6
	v_mul_f16_sdwa v22, v129, v19 dst_sel:DWORD dst_unused:UNUSED_PAD src0_sel:WORD_1 src1_sel:DWORD
	v_lshlrev_b32_e32 v2, v18, v20
	v_lshl_or_b32 v14, v14, 9, 0x7c00
	v_cndmask_b32_e64 v5, 0x7c00, v5, s0
	v_cmp_eq_u32_e64 s0, 0x40f, v6
	v_fmac_f16_e32 v22, v129, v0
	v_lshrrev_b32_e32 v6, 16, v15
	v_and_or_b32 v15, 0x1ff, v4, v3
	v_add_nc_u32_e32 v18, 0xfffffc10, v21
	v_cndmask_b32_e64 v5, v5, v14, s0
	v_cmp_ne_u32_e64 s0, v2, v17
	v_cvt_f32_f16_e32 v14, v22
	v_bfe_u32 v21, v4, 20, 11
	v_mul_f16_sdwa v0, v129, v0 dst_sel:DWORD dst_unused:UNUSED_PAD src0_sel:WORD_1 src1_sel:DWORD
	v_and_or_b32 v22, 0x8000, v6, v5
	v_cndmask_b32_e64 v17, 0, 1, s0
	v_cmp_ne_u32_e64 s0, 0, v15
	v_cvt_f64_f32_e32 v[2:3], v14
	v_lshrrev_b32_e32 v15, 8, v4
	v_lshl_or_b32 v6, v18, 12, v10
	v_or_b32_e32 v5, v20, v17
	v_cndmask_b32_e64 v14, 0, 1, s0
	v_cmp_gt_i32_e64 s0, 1, v18
	v_fma_f16 v0, v129, v19, -v0
	v_add_nc_u32_e32 v19, 0xfffffc10, v21
	v_lshrrev_b32_e32 v4, 16, v4
	v_and_or_b32 v20, 0xffe, v15, v14
	v_sub_nc_u32_e32 v14, 0x3f1, v21
	v_and_b32_e32 v15, 0xffff, v16
	v_cndmask_b32_e64 v16, v6, v5, s0
	v_add_co_u32 v5, s0, v12, s6
	v_or_b32_e32 v17, 0x1000, v20
	v_med3_i32 v23, v14, 0, 13
	v_add_co_ci_u32_e64 v6, s0, s7, v13, s0
	v_and_b32_e32 v25, 7, v16
	v_add_co_u32 v14, s0, v5, s6
	v_lshrrev_b32_e32 v26, v23, v17
	v_mul_f64 v[12:13], v[2:3], s[4:5]
	v_lshl_or_b32 v22, v22, 16, v15
	v_add_co_ci_u32_e64 v15, s0, s7, v6, s0
	v_lshlrev_b32_e32 v2, v23, v26
	v_cmp_lt_i32_e64 s0, 5, v25
	v_cmp_eq_u32_e64 s1, 3, v25
	v_lshrrev_b32_e32 v3, 2, v16
	v_cvt_f32_f16_e32 v0, v0
	v_cmp_ne_u32_e64 s2, v2, v17
	s_or_b32 s0, s1, s0
	v_add_co_ci_u32_e64 v21, s0, 0, v3, s0
	v_cndmask_b32_e64 v2, 0, 1, s2
	v_cmp_ne_u32_e64 s0, 0, v10
	v_cvt_f64_f32_e32 v[16:17], v0
	v_lshl_or_b32 v0, v19, 12, v20
	v_or_b32_e32 v23, v26, v2
	v_cndmask_b32_e64 v10, 0, 1, s0
	v_cmp_gt_i32_e64 s0, 1, v19
	v_and_or_b32 v12, 0x1ff, v13, v12
	ds_read2st64_b32 v[2:3], v7 offset0:57 offset1:64
	v_lshrrev_b32_e32 v25, 8, v13
	v_lshl_or_b32 v10, v10, 9, 0x7c00
	v_cndmask_b32_e64 v0, v0, v23, s0
	v_cmp_gt_i32_e64 s0, 31, v18
	v_bfe_u32 v26, v13, 20, 11
	global_store_dword v[5:6], v24, off
	global_store_dword v[14:15], v22, off
	v_and_b32_e32 v23, 7, v0
	v_cndmask_b32_e64 v21, 0x7c00, v21, s0
	v_cmp_ne_u32_e64 s0, 0, v12
	v_lshrrev_b32_e32 v0, 2, v0
	v_cmp_eq_u32_e64 s1, 3, v23
	v_cndmask_b32_e64 v12, 0, 1, s0
	v_cmp_eq_u32_e64 s0, 0x40f, v18
	v_and_or_b32 v12, 0xffe, v25, v12
	v_cndmask_b32_e64 v18, v21, v10, s0
	v_cmp_lt_i32_e64 s0, 5, v23
	v_lshrrev_b32_e32 v21, 16, v11
	v_mul_f64 v[10:11], v[16:17], s[4:5]
	v_sub_nc_u32_e32 v25, 0x3f1, v26
	v_or_b32_e32 v23, 0x1000, v12
	s_or_b32 s0, s1, s0
	s_waitcnt lgkmcnt(0)
	v_lshrrev_b32_e32 v27, 16, v2
	v_add_co_ci_u32_e64 v0, s0, 0, v0, s0
	v_med3_i32 v16, v25, 0, 13
	v_cmp_ne_u32_e64 s0, 0, v20
	v_mul_f16_sdwa v17, v128, v27 dst_sel:DWORD dst_unused:UNUSED_PAD src0_sel:WORD_1 src1_sel:DWORD
	v_and_or_b32 v18, 0x8000, v21, v18
	v_lshrrev_b32_e32 v25, v16, v23
	v_cndmask_b32_e64 v20, 0, 1, s0
	v_cmp_gt_i32_e64 s0, 31, v19
	v_fmac_f16_e32 v17, v128, v2
	v_and_b32_e32 v18, 0xffff, v18
	v_lshlrev_b32_e32 v21, v16, v25
	v_lshl_or_b32 v20, v20, 9, 0x7c00
	v_cndmask_b32_e64 v0, 0x7c00, v0, s0
	v_cmp_eq_u32_e64 s0, 0x40f, v19
	v_cvt_f32_f16_e32 v16, v17
	v_and_or_b32 v10, 0x1ff, v11, v10
	v_mul_f16_sdwa v2, v128, v2 dst_sel:DWORD dst_unused:UNUSED_PAD src0_sel:WORD_1 src1_sel:DWORD
	v_cndmask_b32_e64 v0, v0, v20, s0
	v_cmp_ne_u32_e64 s0, v21, v23
	v_cvt_f64_f32_e32 v[16:17], v16
	v_add_nc_u32_e32 v20, 0xfffffc10, v26
	v_lshrrev_b32_e32 v21, 8, v11
	v_bfe_u32 v23, v11, 20, 11
	v_cndmask_b32_e64 v19, 0, 1, s0
	v_cmp_ne_u32_e64 s0, 0, v10
	v_and_or_b32 v0, 0x8000, v4, v0
	v_fma_f16 v2, v128, v27, -v2
	v_or_b32_e32 v4, v25, v19
	v_cndmask_b32_e64 v10, 0, 1, s0
	v_lshl_or_b32 v19, v20, 12, v12
	v_cmp_gt_i32_e64 s0, 1, v20
	v_lshl_or_b32 v0, v0, 16, v18
	v_cvt_f32_f16_e32 v2, v2
	v_and_or_b32 v10, 0xffe, v21, v10
	v_sub_nc_u32_e32 v21, 0x3f1, v23
	v_cndmask_b32_e64 v4, v19, v4, s0
	v_add_co_u32 v14, s0, v14, s6
	v_or_b32_e32 v19, 0x1000, v10
	v_med3_i32 v21, v21, 0, 13
	v_and_b32_e32 v5, 7, v4
	v_mul_f64 v[16:17], v[16:17], s[4:5]
	v_add_co_ci_u32_e64 v15, s0, s7, v15, s0
	v_lshrrev_b32_e32 v6, v21, v19
	v_cmp_lt_i32_e64 s0, 5, v5
	v_cmp_eq_u32_e64 s1, 3, v5
	v_lshrrev_b32_e32 v4, 2, v4
	global_store_dword v[14:15], v0, off
	v_lshlrev_b32_e32 v18, v21, v6
	v_add_nc_u32_e32 v21, 0xfffffc10, v23
	s_or_b32 s0, s1, s0
	v_add_co_ci_u32_e64 v4, s0, 0, v4, s0
	v_cmp_ne_u32_e64 s2, v18, v19
	v_cmp_ne_u32_e64 s0, 0, v12
	v_cvt_f64_f32_e32 v[18:19], v2
	v_cndmask_b32_e64 v5, 0, 1, s2
	v_cndmask_b32_e64 v12, 0, 1, s0
	v_cmp_gt_i32_e64 s0, 1, v21
	v_and_or_b32 v16, 0x1ff, v17, v16
	v_lshrrev_b32_e32 v23, 8, v17
	v_or_b32_e32 v5, v6, v5
	v_lshl_or_b32 v6, v21, 12, v10
	v_lshl_or_b32 v12, v12, 9, 0x7c00
	v_bfe_u32 v24, v17, 20, 11
	v_add_co_u32 v14, s2, v14, s8
	v_cndmask_b32_e64 v2, v6, v5, s0
	v_cmp_gt_i32_e64 s0, 31, v20
	ds_read2st64_b32 v[5:6], v8 offset0:101 offset1:108
	v_add_co_ci_u32_e64 v15, s2, s9, v15, s2
	v_and_b32_e32 v22, 7, v2
	v_cndmask_b32_e64 v4, 0x7c00, v4, s0
	v_cmp_ne_u32_e64 s0, 0, v16
	v_lshrrev_b32_e32 v2, 2, v2
	v_lshrrev_b32_e32 v17, 16, v17
	v_cmp_eq_u32_e64 s1, 3, v22
	v_cndmask_b32_e64 v16, 0, 1, s0
	v_cmp_eq_u32_e64 s0, 0x40f, v20
	v_lshrrev_b32_e32 v20, 16, v13
	v_and_or_b32 v16, 0xffe, v23, v16
	v_cndmask_b32_e64 v4, v4, v12, s0
	v_cmp_lt_i32_e64 s0, 5, v22
	v_mul_f64 v[12:13], v[18:19], s[4:5]
	v_sub_nc_u32_e32 v23, 0x3f1, v24
	v_or_b32_e32 v22, 0x1000, v16
	s_waitcnt lgkmcnt(0)
	v_lshrrev_b32_e32 v19, 16, v5
	s_or_b32 s0, s1, s0
	v_and_or_b32 v4, 0x8000, v20, v4
	v_add_co_ci_u32_e64 v2, s0, 0, v2, s0
	v_med3_i32 v18, v23, 0, 13
	v_cmp_ne_u32_e64 s0, 0, v10
	v_mul_f16_sdwa v23, v127, v19 dst_sel:DWORD dst_unused:UNUSED_PAD src0_sel:WORD_1 src1_sel:DWORD
	v_add_nc_u32_e32 v20, 0xfffffc10, v24
	v_and_b32_e32 v4, 0xffff, v4
	v_lshrrev_b32_e32 v25, v18, v22
	v_cndmask_b32_e64 v10, 0, 1, s0
	v_cmp_gt_i32_e64 s0, 31, v21
	v_fmac_f16_e32 v23, v127, v5
	v_lshlrev_b32_e32 v18, v18, v25
	v_lshl_or_b32 v10, v10, 9, 0x7c00
	v_cndmask_b32_e64 v2, 0x7c00, v2, s0
	v_cmp_eq_u32_e64 s0, 0x40f, v21
	v_and_or_b32 v12, 0x1ff, v13, v12
	v_lshrrev_b32_e32 v21, 16, v11
	v_bfe_u32 v24, v13, 20, 11
	v_cndmask_b32_e64 v2, v2, v10, s0
	v_cmp_ne_u32_e64 s0, v18, v22
	v_cvt_f32_f16_e32 v10, v23
	v_lshl_or_b32 v22, v20, 12, v16
	v_lshrrev_b32_e32 v23, 8, v13
	v_and_or_b32 v2, 0x8000, v21, v2
	v_cndmask_b32_e64 v18, 0, 1, s0
	v_cmp_ne_u32_e64 s0, 0, v12
	v_cvt_f64_f32_e32 v[10:11], v10
	v_sub_nc_u32_e32 v21, 0x3f1, v24
	v_lshl_or_b32 v2, v2, 16, v4
	v_or_b32_e32 v18, v25, v18
	v_cndmask_b32_e64 v12, 0, 1, s0
	v_cmp_gt_i32_e64 s0, 1, v20
	v_med3_i32 v21, v21, 0, 13
	v_mul_f16_sdwa v4, v127, v5 dst_sel:DWORD dst_unused:UNUSED_PAD src0_sel:WORD_1 src1_sel:DWORD
	global_store_dword v[14:15], v2, off
	v_and_or_b32 v12, 0xffe, v23, v12
	v_cndmask_b32_e64 v18, v22, v18, s0
	v_fma_f16 v4, v127, v19, -v4
	v_or_b32_e32 v22, 0x1000, v12
	v_and_b32_e32 v0, 7, v18
	v_lshrrev_b32_e32 v5, 2, v18
	v_cvt_f32_f16_e32 v4, v4
	v_cmp_lt_i32_e64 s0, 5, v0
	v_cmp_eq_u32_e64 s1, 3, v0
	v_lshrrev_b32_e32 v0, v21, v22
	v_mul_f64 v[10:11], v[10:11], s[4:5]
	v_cvt_f64_f32_e32 v[18:19], v4
	s_or_b32 s0, s1, s0
	v_lshlrev_b32_e32 v21, v21, v0
	v_add_co_ci_u32_e64 v23, s0, 0, v5, s0
	ds_read2st64_b32 v[4:5], v9 offset0:145 offset1:152
	v_cmp_ne_u32_e64 s0, v21, v22
	v_add_nc_u32_e32 v22, 0xfffffc10, v24
	v_cndmask_b32_e64 v21, 0, 1, s0
	v_cmp_ne_u32_e64 s0, 0, v16
	v_or_b32_e32 v0, v0, v21
	v_cndmask_b32_e64 v16, 0, 1, s0
	v_cmp_gt_i32_e64 s0, 31, v20
	v_lshl_or_b32 v21, v22, 12, v12
	v_and_or_b32 v10, 0x1ff, v11, v10
	v_mul_f64 v[18:19], v[18:19], s[4:5]
	v_lshl_or_b32 v16, v16, 9, 0x7c00
	v_cndmask_b32_e64 v23, 0x7c00, v23, s0
	v_cmp_gt_i32_e64 s0, 1, v22
	v_cndmask_b32_e64 v0, v21, v0, s0
	v_cmp_eq_u32_e64 s0, 0x40f, v20
	v_lshrrev_b32_e32 v20, 8, v11
	v_bfe_u32 v21, v11, 20, 11
	v_lshrrev_b32_e32 v11, 16, v11
	v_cndmask_b32_e64 v2, v23, v16, s0
	v_cmp_ne_u32_e64 s0, 0, v10
	v_and_b32_e32 v16, 7, v0
	s_waitcnt lgkmcnt(0)
	v_lshrrev_b32_e32 v23, 16, v4
	v_lshrrev_b32_e32 v0, 2, v0
	v_and_or_b32 v2, 0x8000, v17, v2
	v_cndmask_b32_e64 v10, 0, 1, s0
	v_cmp_lt_i32_e64 s0, 5, v16
	v_cmp_eq_u32_e64 s1, 3, v16
	v_mul_f16_sdwa v24, v126, v23 dst_sel:DWORD dst_unused:UNUSED_PAD src0_sel:WORD_1 src1_sel:DWORD
	v_and_or_b32 v18, 0x1ff, v19, v18
	v_and_or_b32 v10, 0xffe, v20, v10
	v_sub_nc_u32_e32 v20, 0x3f1, v21
	s_or_b32 s0, s1, s0
	v_fmac_f16_e32 v24, v126, v4
	v_add_co_ci_u32_e64 v0, s0, 0, v0, s0
	v_or_b32_e32 v25, 0x1000, v10
	v_med3_i32 v16, v20, 0, 13
	v_cmp_gt_i32_e64 s0, 31, v22
	v_cvt_f32_f16_e32 v17, v24
	v_add_nc_u32_e32 v21, 0xfffffc10, v21
	v_bfe_u32 v26, v19, 20, 11
	v_lshrrev_b32_e32 v20, v16, v25
	v_cndmask_b32_e64 v0, 0x7c00, v0, s0
	v_cmp_ne_u32_e64 s0, 0, v12
	v_mul_f16_sdwa v4, v126, v4 dst_sel:DWORD dst_unused:UNUSED_PAD src0_sel:WORD_1 src1_sel:DWORD
	v_and_b32_e32 v2, 0xffff, v2
	v_lshlrev_b32_e32 v24, v16, v20
	v_cvt_f64_f32_e32 v[16:17], v17
	v_cndmask_b32_e64 v12, 0, 1, s0
	v_fma_f16 v4, v126, v23, -v4
	v_add_nc_u32_e32 v23, 0xfffffc10, v26
	v_cmp_ne_u32_e64 s0, v24, v25
	v_lshrrev_b32_e32 v25, 8, v19
	v_lshl_or_b32 v12, v12, 9, 0x7c00
	v_cvt_f32_f16_e32 v4, v4
	v_lshrrev_b32_e32 v19, 16, v19
	v_cndmask_b32_e64 v24, 0, 1, s0
	v_cmp_ne_u32_e64 s0, 0, v18
	v_or_b32_e32 v20, v20, v24
	v_cndmask_b32_e64 v18, 0, 1, s0
	v_cmp_eq_u32_e64 s0, 0x40f, v22
	v_sub_nc_u32_e32 v24, 0x3f1, v26
	v_and_or_b32 v18, 0xffe, v25, v18
	v_lshl_or_b32 v25, v21, 12, v10
	v_cndmask_b32_e64 v0, v0, v12, s0
	v_cmp_gt_i32_e64 s0, 1, v21
	v_med3_i32 v24, v24, 0, 13
	v_or_b32_e32 v22, 0x1000, v18
	v_cndmask_b32_e64 v20, v25, v20, s0
	v_lshrrev_b32_e32 v25, 16, v13
	v_mul_f64 v[12:13], v[16:17], s[4:5]
	v_lshrrev_b32_e32 v27, v24, v22
	v_and_b32_e32 v16, 7, v20
	v_lshrrev_b32_e32 v20, 2, v20
	v_and_or_b32 v0, 0x8000, v25, v0
	v_lshlrev_b32_e32 v17, v24, v27
	v_lshrrev_b32_e32 v24, 16, v1
	v_cmp_lt_i32_e64 s0, 5, v16
	v_cmp_eq_u32_e64 s1, 3, v16
	v_cmp_ne_u32_e64 s2, v17, v22
	v_cvt_f64_f32_e32 v[16:17], v4
	v_mul_f16_sdwa v25, v125, v24 dst_sel:DWORD dst_unused:UNUSED_PAD src0_sel:WORD_1 src1_sel:DWORD
	s_or_b32 s0, s1, s0
	v_add_co_ci_u32_e64 v4, s0, 0, v20, s0
	v_cmp_ne_u32_e64 s0, 0, v10
	v_cndmask_b32_e64 v22, 0, 1, s2
	v_fmac_f16_e32 v25, v125, v1
	v_and_or_b32 v12, 0x1ff, v13, v12
	v_cndmask_b32_e64 v10, 0, 1, s0
	v_cmp_gt_i32_e64 s0, 31, v21
	v_or_b32_e32 v20, v27, v22
	v_lshl_or_b32 v22, v23, 12, v18
	v_lshl_or_b32 v10, v10, 9, 0x7c00
	v_cndmask_b32_e64 v4, 0x7c00, v4, s0
	v_cmp_gt_i32_e64 s0, 1, v23
	v_mul_f64 v[16:17], v[16:17], s[4:5]
	v_cndmask_b32_e64 v20, v22, v20, s0
	v_cmp_ne_u32_e64 s0, 0, v12
	v_lshrrev_b32_e32 v22, 8, v13
	v_cndmask_b32_e64 v12, 0, 1, s0
	v_cmp_eq_u32_e64 s0, 0x40f, v21
	v_bfe_u32 v21, v13, 20, 11
	v_and_or_b32 v12, 0xffe, v22, v12
	v_cndmask_b32_e64 v4, v4, v10, s0
	v_and_b32_e32 v10, 7, v20
	v_sub_nc_u32_e32 v22, 0x3f1, v21
	v_add_nc_u32_e32 v21, 0xfffffc10, v21
	v_or_b32_e32 v26, 0x1000, v12
	v_and_or_b32 v4, 0x8000, v11, v4
	v_cmp_lt_i32_e64 s0, 5, v10
	v_cmp_eq_u32_e64 s1, 3, v10
	v_lshrrev_b32_e32 v10, 2, v20
	v_cvt_f32_f16_e32 v11, v25
	v_med3_i32 v22, v22, 0, 13
	v_and_or_b32 v16, 0x1ff, v17, v16
	s_or_b32 s0, s1, s0
	v_bfe_u32 v27, v17, 20, 11
	v_add_co_ci_u32_e64 v25, s0, 0, v10, s0
	v_cvt_f64_f32_e32 v[10:11], v11
	v_lshrrev_b32_e32 v20, v22, v26
	v_cmp_ne_u32_e64 s0, 0, v18
	v_and_b32_e32 v4, 0xffff, v4
	v_lshlrev_b32_e32 v22, v22, v20
	v_cndmask_b32_e64 v18, 0, 1, s0
	v_cmp_gt_i32_e64 s0, 31, v23
	v_lshl_or_b32 v18, v18, 9, 0x7c00
	v_cndmask_b32_e64 v25, 0x7c00, v25, s0
	v_cmp_ne_u32_e64 s0, v22, v26
	v_lshrrev_b32_e32 v26, 8, v17
	v_cndmask_b32_e64 v22, 0, 1, s0
	v_cmp_ne_u32_e64 s0, 0, v16
	v_mul_f64 v[10:11], v[10:11], s[4:5]
	v_or_b32_e32 v20, v20, v22
	v_cndmask_b32_e64 v16, 0, 1, s0
	v_cmp_eq_u32_e64 s0, 0x40f, v23
	v_lshl_or_b32 v22, v21, 12, v12
	v_sub_nc_u32_e32 v23, 0x3f1, v27
	v_and_or_b32 v16, 0xffe, v26, v16
	v_cndmask_b32_e64 v18, v25, v18, s0
	v_cmp_gt_i32_e64 s0, 1, v21
	v_mul_f16_sdwa v26, v125, v1 dst_sel:DWORD dst_unused:UNUSED_PAD src0_sel:WORD_1 src1_sel:DWORD
	v_med3_i32 v23, v23, 0, 13
	v_lshl_or_b32 v25, v0, 16, v2
	v_and_or_b32 v2, 0x8000, v19, v18
	v_cndmask_b32_e64 v20, v22, v20, s0
	v_or_b32_e32 v22, 0x1000, v16
	v_add_co_u32 v0, s0, v14, s6
	v_fma_f16 v14, v125, v24, -v26
	v_and_b32_e32 v18, 7, v20
	v_lshrrev_b32_e32 v19, v23, v22
	v_add_co_ci_u32_e64 v1, s0, s7, v15, s0
	v_cvt_f32_f16_e32 v14, v14
	v_cmp_lt_i32_e64 s0, 5, v18
	v_cmp_eq_u32_e64 s1, 3, v18
	v_lshrrev_b32_e32 v18, 2, v20
	v_lshl_or_b32 v4, v2, 16, v4
	v_lshlrev_b32_e32 v2, v23, v19
	v_and_or_b32 v10, 0x1ff, v11, v10
	v_cvt_f64_f32_e32 v[14:15], v14
	s_or_b32 s0, s1, s0
	v_add_nc_u32_e32 v20, 0xfffffc10, v27
	v_add_co_ci_u32_e64 v18, s0, 0, v18, s0
	v_cmp_ne_u32_e64 s2, v2, v22
	v_cmp_ne_u32_e64 s0, 0, v10
	v_lshrrev_b32_e32 v22, 8, v11
	v_bfe_u32 v23, v11, 20, 11
	v_lshrrev_b32_e32 v26, 16, v3
	v_cndmask_b32_e64 v2, 0, 1, s2
	v_cndmask_b32_e64 v10, 0, 1, s0
	v_cmp_ne_u32_e64 s0, 0, v12
	global_store_dword v[0:1], v25, off
	v_lshrrev_b32_e32 v11, 16, v11
	v_or_b32_e32 v2, v19, v2
	v_lshl_or_b32 v19, v20, 12, v16
	v_cndmask_b32_e64 v12, 0, 1, s0
	v_cmp_gt_i32_e64 s0, 1, v20
	v_and_or_b32 v10, 0xffe, v22, v10
	v_mul_f64 v[14:15], v[14:15], s[4:5]
	v_cndmask_b32_e64 v2, v19, v2, s0
	v_cmp_gt_i32_e64 s0, 31, v21
	v_sub_nc_u32_e32 v19, 0x3f1, v23
	v_lshl_or_b32 v12, v12, 9, 0x7c00
	v_or_b32_e32 v24, 0x1000, v10
	v_and_b32_e32 v22, 7, v2
	v_cndmask_b32_e64 v18, 0x7c00, v18, s0
	v_med3_i32 v19, v19, 0, 13
	v_cmp_eq_u32_e64 s0, 0x40f, v21
	v_lshrrev_b32_e32 v21, 16, v13
	v_cmp_eq_u32_e64 s1, 3, v22
	v_lshrrev_b32_e32 v2, 2, v2
	v_add_nc_u32_e32 v23, 0xfffffc10, v23
	v_cndmask_b32_e64 v18, v18, v12, s0
	v_cmp_lt_i32_e64 s0, 5, v22
	v_lshrrev_b32_e32 v22, v19, v24
	v_add_co_u32 v12, s2, v0, s6
	v_and_or_b32 v21, 0x8000, v21, v18
	s_or_b32 s0, s1, s0
	v_lshlrev_b32_e32 v18, v19, v22
	v_add_co_ci_u32_e64 v2, s0, 0, v2, s0
	v_and_or_b32 v14, 0x1ff, v15, v14
	v_mul_f16_sdwa v19, v124, v26 dst_sel:DWORD dst_unused:UNUSED_PAD src0_sel:WORD_1 src1_sel:DWORD
	v_cmp_ne_u32_e64 s0, v18, v24
	v_lshrrev_b32_e32 v24, 8, v15
	v_bfe_u32 v27, v15, 20, 11
	v_add_co_ci_u32_e64 v13, s2, s7, v1, s2
	v_cndmask_b32_e64 v18, 0, 1, s0
	v_cmp_ne_u32_e64 s0, 0, v16
	v_fmac_f16_e32 v19, v124, v3
	v_mul_f16_sdwa v3, v124, v3 dst_sel:DWORD dst_unused:UNUSED_PAD src0_sel:WORD_1 src1_sel:DWORD
	v_and_b32_e32 v21, 0xffff, v21
	v_or_b32_e32 v18, v22, v18
	v_cndmask_b32_e64 v16, 0, 1, s0
	v_cmp_ne_u32_e64 s0, 0, v14
	v_lshl_or_b32 v22, v23, 12, v10
	v_cvt_f32_f16_e32 v19, v19
	v_fma_f16 v3, v124, v26, -v3
	v_lshl_or_b32 v16, v16, 9, 0x7c00
	v_cndmask_b32_e64 v14, 0, 1, s0
	v_cmp_gt_i32_e64 s0, 1, v23
	global_store_dword v[12:13], v4, off
	v_lshrrev_b32_e32 v15, 16, v15
	v_and_or_b32 v14, 0xffe, v24, v14
	v_cndmask_b32_e64 v22, v22, v18, s0
	v_cmp_gt_i32_e64 s0, 31, v20
	v_sub_nc_u32_e32 v24, 0x3f1, v27
	v_cvt_f64_f32_e32 v[18:19], v19
	v_or_b32_e32 v29, 0x1000, v14
	v_and_b32_e32 v28, 7, v22
	v_cndmask_b32_e64 v2, 0x7c00, v2, s0
	v_cmp_eq_u32_e64 s0, 0x40f, v20
	v_med3_i32 v24, v24, 0, 13
	v_cmp_eq_u32_e64 s1, 3, v28
	v_cndmask_b32_e64 v2, v2, v16, s0
	v_lshrrev_b32_e32 v16, 16, v17
	v_lshrrev_b32_e32 v20, v24, v29
	v_cmp_lt_i32_e64 s0, 5, v28
	v_cvt_f32_f16_e32 v17, v3
	v_and_or_b32 v28, 0x8000, v16, v2
	v_lshrrev_b32_e32 v2, 2, v22
	v_lshlrev_b32_e32 v16, v24, v20
	s_or_b32 s0, s1, s0
	v_lshl_or_b32 v4, v28, 16, v21
	v_add_co_ci_u32_e64 v22, s0, 0, v2, s0
	v_cmp_ne_u32_e64 s0, v16, v29
	v_mul_f64 v[2:3], v[18:19], s[4:5]
	v_cvt_f64_f32_e32 v[16:17], v17
	v_add_nc_u32_e32 v19, 0xfffffc10, v27
	v_cndmask_b32_e64 v18, 0, 1, s0
	v_cmp_ne_u32_e64 s0, 0, v10
	v_or_b32_e32 v18, v20, v18
	v_cndmask_b32_e64 v10, 0, 1, s0
	v_cmp_gt_i32_e64 s0, 31, v23
	v_lshl_or_b32 v20, v19, 12, v14
	v_lshl_or_b32 v10, v10, 9, 0x7c00
	v_cndmask_b32_e64 v22, 0x7c00, v22, s0
	v_cmp_gt_i32_e64 s0, 1, v19
	v_cndmask_b32_e64 v18, v20, v18, s0
	v_cmp_eq_u32_e64 s0, 0x40f, v23
	v_and_or_b32 v2, 0x1ff, v3, v2
	v_and_b32_e32 v0, 7, v18
	v_cndmask_b32_e64 v10, v22, v10, s0
	v_cmp_ne_u32_e64 s2, 0, v2
	v_cmp_lt_i32_e64 s0, 5, v0
	v_cmp_eq_u32_e64 s1, 3, v0
	v_mul_f64 v[0:1], v[16:17], s[4:5]
	v_and_or_b32 v20, 0x8000, v11, v10
	v_lshrrev_b32_e32 v10, 2, v18
	v_cndmask_b32_e64 v2, 0, 1, s2
	v_lshrrev_b32_e32 v11, 8, v3
	v_bfe_u32 v16, v3, 20, 11
	s_or_b32 s0, s1, s0
	v_lshrrev_b32_e32 v17, 16, v6
	v_add_co_ci_u32_e64 v10, s0, 0, v10, s0
	v_and_or_b32 v2, 0xffe, v11, v2
	v_sub_nc_u32_e32 v11, 0x3f1, v16
	v_cmp_ne_u32_e64 s0, 0, v14
	v_mul_f16_sdwa v21, v123, v17 dst_sel:DWORD dst_unused:UNUSED_PAD src0_sel:WORD_1 src1_sel:DWORD
	v_or_b32_e32 v18, 0x1000, v2
	v_med3_i32 v11, v11, 0, 13
	v_cndmask_b32_e64 v14, 0, 1, s0
	v_cmp_gt_i32_e64 s0, 31, v19
	v_fmac_f16_e32 v21, v123, v6
	v_mul_f16_sdwa v6, v123, v6 dst_sel:DWORD dst_unused:UNUSED_PAD src0_sel:WORD_1 src1_sel:DWORD
	v_lshrrev_b32_e32 v22, v11, v18
	v_lshl_or_b32 v14, v14, 9, 0x7c00
	v_cndmask_b32_e64 v10, 0x7c00, v10, s0
	v_and_or_b32 v0, 0x1ff, v1, v0
	v_cmp_eq_u32_e64 s0, 0x40f, v19
	v_lshlrev_b32_e32 v19, v11, v22
	v_bfe_u32 v23, v1, 20, 11
	v_fma_f16 v6, v123, v17, -v6
	v_cndmask_b32_e64 v14, v10, v14, s0
	v_cmp_ne_u32_e64 s0, 0, v0
	v_cvt_f32_f16_e32 v10, v21
	v_lshrrev_b32_e32 v21, 8, v1
	v_cvt_f32_f16_e32 v6, v6
	v_and_or_b32 v14, 0x8000, v15, v14
	v_cndmask_b32_e64 v0, 0, 1, s0
	v_cmp_ne_u32_e64 s0, v19, v18
	v_cvt_f64_f32_e32 v[10:11], v10
	v_add_nc_u32_e32 v19, 0xfffffc10, v16
	v_sub_nc_u32_e32 v16, 0x3f1, v23
	v_and_or_b32 v0, 0xffe, v21, v0
	v_cndmask_b32_e64 v18, 0, 1, s0
	v_and_b32_e32 v15, 0xffff, v20
	v_lshl_or_b32 v21, v19, 12, v2
	v_med3_i32 v16, v16, 0, 13
	v_cmp_gt_i32_e64 s0, 1, v19
	v_or_b32_e32 v18, v22, v18
	v_or_b32_e32 v22, 0x1000, v0
	v_cndmask_b32_e64 v18, v21, v18, s0
	v_lshrrev_b32_e32 v20, v16, v22
	v_add_co_u32 v12, s0, v12, s6
	v_add_co_ci_u32_e64 v13, s0, s7, v13, s0
	v_lshlrev_b32_e32 v16, v16, v20
	v_and_b32_e32 v24, 7, v18
	v_mul_f64 v[10:11], v[10:11], s[4:5]
	v_lshl_or_b32 v21, v14, 16, v15
	v_add_co_u32 v14, s0, v12, s8
	v_cmp_ne_u32_e64 s1, v16, v22
	v_add_co_ci_u32_e64 v15, s0, s9, v13, s0
	v_cmp_lt_i32_e64 s0, 5, v24
	v_lshrrev_b32_e32 v18, 2, v18
	v_cndmask_b32_e64 v16, 0, 1, s1
	v_cmp_eq_u32_e64 s1, 3, v24
	v_add_nc_u32_e32 v22, 0xfffffc10, v23
	global_store_dword v[12:13], v4, off
	global_store_dword v[14:15], v21, off
	v_or_b32_e32 v20, v20, v16
	s_or_b32 s0, s1, s0
	v_cvt_f64_f32_e32 v[16:17], v6
	v_add_co_ci_u32_e64 v6, s0, 0, v18, s0
	v_cmp_ne_u32_e64 s0, 0, v2
	v_lshl_or_b32 v23, v22, 12, v0
	v_and_or_b32 v10, 0x1ff, v11, v10
	v_bfe_u32 v24, v11, 20, 11
	v_cndmask_b32_e64 v2, 0, 1, s0
	v_cmp_gt_i32_e64 s0, 1, v22
	v_lshl_or_b32 v2, v2, 9, 0x7c00
	v_cndmask_b32_e64 v18, v23, v20, s0
	v_cmp_gt_i32_e64 s0, 31, v19
	v_lshrrev_b32_e32 v23, 8, v11
	v_and_b32_e32 v20, 7, v18
	v_cndmask_b32_e64 v6, 0x7c00, v6, s0
	v_cmp_ne_u32_e64 s0, 0, v10
	v_cmp_eq_u32_e64 s1, 3, v20
	v_cndmask_b32_e64 v10, 0, 1, s0
	v_cmp_eq_u32_e64 s0, 0x40f, v19
	v_lshrrev_b32_e32 v19, 16, v3
	v_and_or_b32 v10, 0xffe, v23, v10
	v_cndmask_b32_e64 v6, v6, v2, s0
	v_cmp_lt_i32_e64 s0, 5, v20
	v_mul_f64 v[2:3], v[16:17], s[4:5]
	v_lshrrev_b32_e32 v17, 2, v18
	v_sub_nc_u32_e32 v23, 0x3f1, v24
	v_or_b32_e32 v18, 0x1000, v10
	s_or_b32 s0, s1, s0
	v_lshrrev_b32_e32 v16, 16, v5
	v_add_co_ci_u32_e64 v17, s0, 0, v17, s0
	v_med3_i32 v20, v23, 0, 13
	v_cmp_ne_u32_e64 s0, 0, v0
	v_mul_f16_sdwa v23, v122, v16 dst_sel:DWORD dst_unused:UNUSED_PAD src0_sel:WORD_1 src1_sel:DWORD
	v_and_or_b32 v6, 0x8000, v19, v6
	v_lshrrev_b32_e32 v25, v20, v18
	v_cndmask_b32_e64 v0, 0, 1, s0
	v_cmp_gt_i32_e64 s0, 31, v22
	v_fmac_f16_e32 v23, v122, v5
	v_and_b32_e32 v6, 0xffff, v6
	v_lshlrev_b32_e32 v19, v20, v25
	v_lshl_or_b32 v0, v0, 9, 0x7c00
	v_cndmask_b32_e64 v17, 0x7c00, v17, s0
	v_cmp_eq_u32_e64 s0, 0x40f, v22
	v_and_or_b32 v2, 0x1ff, v3, v2
	v_cvt_f32_f16_e32 v20, v23
	v_lshrrev_b32_e32 v22, 16, v1
	v_bfe_u32 v23, v3, 20, 11
	v_cndmask_b32_e64 v17, v17, v0, s0
	v_cmp_ne_u32_e64 s0, v19, v18
	v_cvt_f64_f32_e32 v[0:1], v20
	v_add_nc_u32_e32 v19, 0xfffffc10, v24
	v_lshrrev_b32_e32 v20, 8, v3
	v_and_or_b32 v17, 0x8000, v22, v17
	v_cndmask_b32_e64 v18, 0, 1, s0
	v_cmp_ne_u32_e64 s0, 0, v2
	v_lshl_or_b32 v22, v19, 12, v10
	v_lshl_or_b32 v6, v17, 16, v6
	v_or_b32_e32 v18, v25, v18
	v_cndmask_b32_e64 v2, 0, 1, s0
	v_cmp_gt_i32_e64 s0, 1, v19
	v_and_or_b32 v2, 0xffe, v20, v2
	v_sub_nc_u32_e32 v20, 0x3f1, v23
	v_cndmask_b32_e64 v18, v22, v18, s0
	v_add_co_u32 v4, s0, v14, s6
	v_or_b32_e32 v22, 0x1000, v2
	v_med3_i32 v20, v20, 0, 13
	v_and_b32_e32 v17, 7, v18
	v_mul_f64 v[12:13], v[0:1], s[4:5]
	v_mul_f16_sdwa v0, v122, v5 dst_sel:DWORD dst_unused:UNUSED_PAD src0_sel:WORD_1 src1_sel:DWORD
	v_add_co_ci_u32_e64 v5, s0, s7, v15, s0
	v_lshrrev_b32_e32 v21, v20, v22
	v_cmp_lt_i32_e64 s0, 5, v17
	v_cmp_eq_u32_e64 s1, 3, v17
	v_fma_f16 v0, v122, v16, -v0
	v_lshrrev_b32_e32 v14, 2, v18
	v_lshlrev_b32_e32 v1, v20, v21
	v_add_nc_u32_e32 v16, 0xfffffc10, v23
	s_or_b32 s0, s1, s0
	v_cvt_f32_f16_e32 v0, v0
	v_add_co_ci_u32_e64 v17, s0, 0, v14, s0
	v_cmp_ne_u32_e64 s2, v1, v22
	v_cmp_ne_u32_e64 s0, 0, v10
	v_cvt_f64_f32_e32 v[14:15], v0
	v_lshl_or_b32 v20, v16, 12, v2
	global_store_dword v[4:5], v6, off
	v_cndmask_b32_e64 v1, 0, 1, s2
	v_cndmask_b32_e64 v10, 0, 1, s0
	v_cmp_gt_i32_e64 s0, 1, v16
	v_and_or_b32 v12, 0x1ff, v13, v12
	v_bfe_u32 v22, v13, 20, 11
	v_or_b32_e32 v18, v21, v1
	ds_read2st64_b32 v[0:1], v113 offset0:28 offset1:35
	v_lshl_or_b32 v10, v10, 9, 0x7c00
	v_lshrrev_b32_e32 v21, 8, v13
	v_lshrrev_b32_e32 v13, 16, v13
	v_cndmask_b32_e64 v18, v20, v18, s0
	v_cmp_gt_i32_e64 s0, 31, v19
	v_and_b32_e32 v20, 7, v18
	v_cndmask_b32_e64 v17, 0x7c00, v17, s0
	v_cmp_ne_u32_e64 s0, 0, v12
	v_cmp_eq_u32_e64 s1, 3, v20
	v_cndmask_b32_e64 v12, 0, 1, s0
	v_cmp_eq_u32_e64 s0, 0x40f, v19
	v_lshrrev_b32_e32 v19, 16, v11
	s_waitcnt lgkmcnt(0)
	v_lshrrev_b32_e32 v23, 16, v0
	v_and_or_b32 v12, 0xffe, v21, v12
	v_cndmask_b32_e64 v17, v17, v10, s0
	v_cmp_lt_i32_e64 s0, 5, v20
	v_mul_f64 v[10:11], v[14:15], s[4:5]
	v_lshrrev_b32_e32 v14, 2, v18
	v_sub_nc_u32_e32 v21, 0x3f1, v22
	v_or_b32_e32 v15, 0x1000, v12
	s_or_b32 s0, s1, s0
	v_mul_f16_sdwa v20, v121, v23 dst_sel:DWORD dst_unused:UNUSED_PAD src0_sel:WORD_1 src1_sel:DWORD
	v_add_co_ci_u32_e64 v14, s0, 0, v14, s0
	v_med3_i32 v18, v21, 0, 13
	v_cmp_ne_u32_e64 s0, 0, v2
	v_fmac_f16_e32 v20, v121, v0
	v_and_or_b32 v17, 0x8000, v19, v17
	v_mul_f16_sdwa v0, v121, v0 dst_sel:DWORD dst_unused:UNUSED_PAD src0_sel:WORD_1 src1_sel:DWORD
	v_lshrrev_b32_e32 v21, v18, v15
	v_cndmask_b32_e64 v2, 0, 1, s0
	v_cmp_gt_i32_e64 s0, 31, v16
	v_cvt_f32_f16_e32 v19, v20
	v_and_b32_e32 v17, 0xffff, v17
	v_lshlrev_b32_e32 v18, v18, v21
	v_lshl_or_b32 v2, v2, 9, 0x7c00
	v_cndmask_b32_e64 v14, 0x7c00, v14, s0
	v_cmp_eq_u32_e64 s0, 0x40f, v16
	v_and_or_b32 v10, 0x1ff, v11, v10
	v_lshrrev_b32_e32 v16, 16, v3
	v_bfe_u32 v20, v11, 20, 11
	v_fma_f16 v0, v121, v23, -v0
	v_cndmask_b32_e64 v14, v14, v2, s0
	v_cmp_ne_u32_e64 s0, v18, v15
	v_cvt_f64_f32_e32 v[2:3], v19
	v_add_nc_u32_e32 v18, 0xfffffc10, v22
	v_lshrrev_b32_e32 v19, 8, v11
	v_and_or_b32 v14, 0x8000, v16, v14
	v_cndmask_b32_e64 v15, 0, 1, s0
	v_cmp_ne_u32_e64 s0, 0, v10
	v_lshl_or_b32 v16, v18, 12, v12
	v_cvt_f32_f16_e32 v0, v0
	v_lshl_or_b32 v24, v14, 16, v17
	v_or_b32_e32 v15, v21, v15
	v_cndmask_b32_e64 v10, 0, 1, s0
	v_cmp_gt_i32_e64 s0, 1, v18
	v_lshrrev_b32_e32 v11, 16, v11
	v_and_or_b32 v10, 0xffe, v19, v10
	v_sub_nc_u32_e32 v19, 0x3f1, v20
	v_cndmask_b32_e64 v21, v16, v15, s0
	v_add_co_u32 v16, s0, v4, s6
	v_or_b32_e32 v22, 0x1000, v10
	v_med3_i32 v19, v19, 0, 13
	v_and_b32_e32 v6, 7, v21
	v_mul_f64 v[14:15], v[2:3], s[4:5]
	v_add_co_ci_u32_e64 v17, s0, s7, v5, s0
	v_lshrrev_b32_e32 v25, v19, v22
	v_cmp_lt_i32_e64 s0, 5, v6
	v_cmp_eq_u32_e64 s1, 3, v6
	v_lshrrev_b32_e32 v3, 2, v21
	v_cvt_f64_f32_e32 v[5:6], v0
	v_lshlrev_b32_e32 v2, v19, v25
	v_add_nc_u32_e32 v19, 0xfffffc10, v20
	s_or_b32 s0, s1, s0
	global_store_dword v[16:17], v24, off
	v_add_co_ci_u32_e64 v0, s0, 0, v3, s0
	v_cmp_ne_u32_e64 s2, v2, v22
	v_cmp_ne_u32_e64 s0, 0, v12
	v_lshl_or_b32 v20, v19, 12, v10
	ds_read2st64_b32 v[3:4], v7 offset0:71 offset1:78
	v_cndmask_b32_e64 v2, 0, 1, s2
	v_cndmask_b32_e64 v12, 0, 1, s0
	v_cmp_gt_i32_e64 s0, 31, v18
	v_and_or_b32 v7, 0x1ff, v15, v14
	v_lshrrev_b32_e32 v14, 8, v15
	v_or_b32_e32 v2, v25, v2
	v_lshl_or_b32 v12, v12, 9, 0x7c00
	v_cndmask_b32_e64 v0, 0x7c00, v0, s0
	v_cmp_gt_i32_e64 s0, 1, v19
	v_mul_f64 v[5:6], v[5:6], s[4:5]
	v_cndmask_b32_e64 v2, v20, v2, s0
	v_cmp_ne_u32_e64 s0, 0, v7
	v_bfe_u32 v20, v15, 20, 11
	v_lshrrev_b32_e32 v15, 16, v15
	s_waitcnt lgkmcnt(0)
	v_lshrrev_b32_e32 v21, 16, v3
	v_cndmask_b32_e64 v7, 0, 1, s0
	v_cmp_eq_u32_e64 s0, 0x40f, v18
	v_and_or_b32 v7, 0xffe, v14, v7
	v_cndmask_b32_e64 v0, v0, v12, s0
	v_and_b32_e32 v12, 7, v2
	v_sub_nc_u32_e32 v14, 0x3f1, v20
	v_lshrrev_b32_e32 v2, 2, v2
	v_or_b32_e32 v18, 0x1000, v7
	v_and_or_b32 v0, 0x8000, v13, v0
	v_cmp_lt_i32_e64 s0, 5, v12
	v_cmp_eq_u32_e64 s1, 3, v12
	v_med3_i32 v14, v14, 0, 13
	v_mul_f16_sdwa v12, v120, v21 dst_sel:DWORD dst_unused:UNUSED_PAD src0_sel:WORD_1 src1_sel:DWORD
	v_and_or_b32 v5, 0x1ff, v6, v5
	v_bfe_u32 v23, v6, 20, 11
	s_or_b32 s0, s1, s0
	v_lshrrev_b32_e32 v22, v14, v18
	v_add_co_ci_u32_e64 v2, s0, 0, v2, s0
	v_cmp_ne_u32_e64 s0, 0, v10
	v_fmac_f16_e32 v12, v120, v3
	v_lshlrev_b32_e32 v13, v14, v22
	v_add_nc_u32_e32 v20, 0xfffffc10, v20
	v_and_b32_e32 v0, 0xffff, v0
	v_cndmask_b32_e64 v10, 0, 1, s0
	v_cmp_gt_i32_e64 s0, 31, v19
	v_cvt_f32_f16_e32 v12, v12
	v_mul_f16_sdwa v3, v120, v3 dst_sel:DWORD dst_unused:UNUSED_PAD src0_sel:WORD_1 src1_sel:DWORD
	v_lshl_or_b32 v10, v10, 9, 0x7c00
	v_cndmask_b32_e64 v2, 0x7c00, v2, s0
	v_cmp_ne_u32_e64 s0, v13, v18
	v_cvt_f64_f32_e32 v[12:13], v12
	v_lshrrev_b32_e32 v18, 8, v6
	v_fma_f16 v3, v120, v21, -v3
	v_cndmask_b32_e64 v14, 0, 1, s0
	v_cmp_ne_u32_e64 s0, 0, v5
	v_cvt_f32_f16_e32 v3, v3
	v_or_b32_e32 v14, v22, v14
	v_cndmask_b32_e64 v5, 0, 1, s0
	v_cmp_eq_u32_e64 s0, 0x40f, v19
	v_and_or_b32 v5, 0xffe, v18, v5
	v_cndmask_b32_e64 v2, v2, v10, s0
	v_sub_nc_u32_e32 v10, 0x3f1, v23
	v_lshl_or_b32 v18, v20, 12, v7
	v_cmp_gt_i32_e64 s0, 1, v20
	v_or_b32_e32 v19, 0x1000, v5
	v_and_or_b32 v2, 0x8000, v11, v2
	v_med3_i32 v22, v10, 0, 13
	v_mul_f64 v[10:11], v[12:13], s[4:5]
	v_cndmask_b32_e64 v14, v18, v14, s0
	v_lshl_or_b32 v0, v2, 16, v0
	v_lshrrev_b32_e32 v18, v22, v19
	v_and_b32_e32 v24, 7, v14
	v_lshrrev_b32_e32 v12, 2, v14
	v_add_nc_u32_e32 v14, 0xfffffc10, v23
	v_lshlrev_b32_e32 v2, v22, v18
	v_cmp_lt_i32_e64 s0, 5, v24
	v_cmp_eq_u32_e64 s1, 3, v24
	v_cmp_ne_u32_e64 s2, v2, v19
	s_or_b32 s0, s1, s0
	v_add_co_ci_u32_e64 v19, s0, 0, v12, s0
	v_cndmask_b32_e64 v2, 0, 1, s2
	v_cmp_ne_u32_e64 s0, 0, v7
	v_cvt_f64_f32_e32 v[12:13], v3
	v_and_or_b32 v10, 0x1ff, v11, v10
	v_lshrrev_b32_e32 v21, 8, v11
	v_or_b32_e32 v2, v18, v2
	v_lshl_or_b32 v18, v14, 12, v5
	v_cndmask_b32_e64 v7, 0, 1, s0
	v_cmp_gt_i32_e64 s0, 1, v14
	v_bfe_u32 v22, v11, 20, 11
	v_lshrrev_b32_e32 v11, 16, v11
	v_lshl_or_b32 v7, v7, 9, 0x7c00
	v_cndmask_b32_e64 v18, v18, v2, s0
	v_cmp_gt_i32_e64 s0, 31, v20
	ds_read2st64_b32 v[2:3], v8 offset0:115 offset1:122
	v_cndmask_b32_e64 v8, 0x7c00, v19, s0
	v_cmp_ne_u32_e64 s0, 0, v10
	v_and_b32_e32 v19, 7, v18
	v_cndmask_b32_e64 v10, 0, 1, s0
	v_cmp_eq_u32_e64 s0, 0x40f, v20
	v_cmp_eq_u32_e64 s1, 3, v19
	v_and_or_b32 v10, 0xffe, v21, v10
	v_cndmask_b32_e64 v20, v8, v7, s0
	v_cmp_lt_i32_e64 s0, 5, v19
	v_mul_f64 v[7:8], v[12:13], s[4:5]
	v_lshrrev_b32_e32 v12, 2, v18
	v_sub_nc_u32_e32 v21, 0x3f1, v22
	v_or_b32_e32 v13, 0x1000, v10
	s_or_b32 s0, s1, s0
	s_waitcnt lgkmcnt(0)
	v_lshrrev_b32_e32 v19, 16, v2
	v_add_co_ci_u32_e64 v12, s0, 0, v12, s0
	v_med3_i32 v18, v21, 0, 13
	v_cmp_ne_u32_e64 s0, 0, v5
	v_mul_f16_sdwa v23, v119, v19 dst_sel:DWORD dst_unused:UNUSED_PAD src0_sel:WORD_1 src1_sel:DWORD
	v_and_or_b32 v15, 0x8000, v15, v20
	v_add_nc_u32_e32 v20, 0xfffffc10, v22
	v_lshrrev_b32_e32 v21, v18, v13
	v_cndmask_b32_e64 v5, 0, 1, s0
	v_cmp_gt_i32_e64 s0, 31, v14
	v_fmac_f16_e32 v23, v119, v2
	v_and_b32_e32 v15, 0xffff, v15
	v_lshlrev_b32_e32 v18, v18, v21
	v_lshl_or_b32 v5, v5, 9, 0x7c00
	v_cndmask_b32_e64 v12, 0x7c00, v12, s0
	v_cmp_eq_u32_e64 s0, 0x40f, v14
	v_and_or_b32 v7, 0x1ff, v8, v7
	v_lshrrev_b32_e32 v14, 16, v6
	v_bfe_u32 v22, v8, 20, 11
	v_mul_f16_sdwa v2, v119, v2 dst_sel:DWORD dst_unused:UNUSED_PAD src0_sel:WORD_1 src1_sel:DWORD
	v_cndmask_b32_e64 v12, v12, v5, s0
	v_cmp_ne_u32_e64 s0, v18, v13
	v_cvt_f32_f16_e32 v5, v23
	v_lshrrev_b32_e32 v18, 8, v8
	v_fma_f16 v2, v119, v19, -v2
	v_and_or_b32 v14, 0x8000, v14, v12
	v_cndmask_b32_e64 v13, 0, 1, s0
	v_cmp_ne_u32_e64 s0, 0, v7
	v_cvt_f64_f32_e32 v[5:6], v5
	v_cvt_f32_f16_e32 v2, v2
	v_lshl_or_b32 v24, v14, 16, v15
	v_or_b32_e32 v12, v21, v13
	v_cndmask_b32_e64 v7, 0, 1, s0
	v_lshl_or_b32 v13, v20, 12, v10
	v_cmp_gt_i32_e64 s0, 1, v20
	v_and_or_b32 v7, 0xffe, v18, v7
	v_sub_nc_u32_e32 v18, 0x3f1, v22
	v_cndmask_b32_e64 v21, v13, v12, s0
	v_add_co_u32 v12, s0, v16, s6
	v_or_b32_e32 v23, 0x1000, v7
	v_med3_i32 v18, v18, 0, 13
	v_add_co_ci_u32_e64 v13, s0, s7, v17, s0
	v_and_b32_e32 v25, 7, v21
	v_add_co_u32 v16, s0, v12, s8
	v_lshrrev_b32_e32 v26, v18, v23
	v_mul_f64 v[14:15], v[5:6], s[4:5]
	v_add_co_ci_u32_e64 v17, s0, s9, v13, s0
	v_cmp_lt_i32_e64 s0, 5, v25
	v_lshlrev_b32_e32 v5, v18, v26
	v_cmp_eq_u32_e64 s1, 3, v25
	v_lshrrev_b32_e32 v6, 2, v21
	v_add_nc_u32_e32 v21, 0xfffffc10, v22
	v_cvt_f64_f32_e32 v[18:19], v2
	v_cmp_ne_u32_e64 s2, v5, v23
	s_or_b32 s0, s1, s0
	v_add_co_ci_u32_e64 v22, s0, 0, v6, s0
	v_cndmask_b32_e64 v5, 0, 1, s2
	v_cmp_ne_u32_e64 s0, 0, v10
	v_lshl_or_b32 v2, v21, 12, v7
	v_or_b32_e32 v23, v26, v5
	ds_read2st64_b32 v[5:6], v9 offset0:159 offset1:166
	v_cndmask_b32_e64 v9, 0, 1, s0
	v_cmp_gt_i32_e64 s0, 1, v21
	v_and_or_b32 v10, 0x1ff, v15, v14
	v_bfe_u32 v25, v15, 20, 11
	global_store_dword v[12:13], v0, off
	global_store_dword v[16:17], v24, off
	v_lshl_or_b32 v9, v9, 9, 0x7c00
	v_cndmask_b32_e64 v2, v2, v23, s0
	v_cmp_gt_i32_e64 s0, 31, v20
	v_lshrrev_b32_e32 v23, 8, v15
	v_lshrrev_b32_e32 v15, 16, v15
	v_cndmask_b32_e64 v14, 0x7c00, v22, s0
	v_cmp_ne_u32_e64 s0, 0, v10
	v_and_b32_e32 v22, 7, v2
	v_lshrrev_b32_e32 v2, 2, v2
	v_cndmask_b32_e64 v10, 0, 1, s0
	v_cmp_eq_u32_e64 s0, 0x40f, v20
	v_cmp_eq_u32_e64 s1, 3, v22
	v_and_or_b32 v20, 0xffe, v23, v10
	v_cndmask_b32_e64 v14, v14, v9, s0
	v_cmp_lt_i32_e64 s0, 5, v22
	v_mul_f64 v[9:10], v[18:19], s[4:5]
	v_sub_nc_u32_e32 v23, 0x3f1, v25
	v_or_b32_e32 v19, 0x1000, v20
	s_waitcnt lgkmcnt(0)
	v_lshrrev_b32_e32 v18, 16, v5
	s_or_b32 s0, s1, s0
	v_and_or_b32 v11, 0x8000, v11, v14
	v_add_co_ci_u32_e64 v2, s0, 0, v2, s0
	v_med3_i32 v22, v23, 0, 13
	v_cmp_ne_u32_e64 s0, 0, v7
	v_mul_f16_sdwa v23, v118, v18 dst_sel:DWORD dst_unused:UNUSED_PAD src0_sel:WORD_1 src1_sel:DWORD
	v_and_b32_e32 v11, 0xffff, v11
	v_lshrrev_b32_e32 v26, v22, v19
	v_cndmask_b32_e64 v7, 0, 1, s0
	v_cmp_gt_i32_e64 s0, 31, v21
	v_fmac_f16_e32 v23, v118, v5
	v_mul_f16_sdwa v5, v118, v5 dst_sel:DWORD dst_unused:UNUSED_PAD src0_sel:WORD_1 src1_sel:DWORD
	v_lshlrev_b32_e32 v14, v22, v26
	v_lshl_or_b32 v7, v7, 9, 0x7c00
	v_cndmask_b32_e64 v2, 0x7c00, v2, s0
	v_cmp_eq_u32_e64 s0, 0x40f, v21
	v_and_or_b32 v9, 0x1ff, v10, v9
	v_cvt_f32_f16_e32 v22, v23
	v_lshrrev_b32_e32 v21, 16, v8
	v_bfe_u32 v23, v10, 20, 11
	v_cndmask_b32_e64 v2, v2, v7, s0
	v_cmp_ne_u32_e64 s0, v14, v19
	v_cvt_f64_f32_e32 v[7:8], v22
	v_add_nc_u32_e32 v19, 0xfffffc10, v25
	v_lshrrev_b32_e32 v22, 8, v10
	v_and_or_b32 v2, 0x8000, v21, v2
	v_cndmask_b32_e64 v14, 0, 1, s0
	v_cmp_ne_u32_e64 s0, 0, v9
	v_lshl_or_b32 v21, v19, 12, v20
	v_fma_f16 v5, v118, v18, -v5
	v_lshl_or_b32 v0, v2, 16, v11
	v_or_b32_e32 v14, v26, v14
	v_cndmask_b32_e64 v9, 0, 1, s0
	v_cmp_gt_i32_e64 s0, 1, v19
	v_cvt_f32_f16_e32 v5, v5
	v_and_or_b32 v9, 0xffe, v22, v9
	v_sub_nc_u32_e32 v22, 0x3f1, v23
	v_cndmask_b32_e64 v14, v21, v14, s0
	v_add_co_u32 v11, s0, v16, s6
	v_or_b32_e32 v21, 0x1000, v9
	v_med3_i32 v22, v22, 0, 13
	v_and_b32_e32 v2, 7, v14
	v_mul_f64 v[7:8], v[7:8], s[4:5]
	v_add_co_ci_u32_e64 v12, s0, s7, v17, s0
	v_lshrrev_b32_e32 v13, v22, v21
	v_cmp_lt_i32_e64 s0, 5, v2
	v_cmp_eq_u32_e64 s1, 3, v2
	v_lshrrev_b32_e32 v2, 2, v14
	global_store_dword v[11:12], v0, off
	v_lshlrev_b32_e32 v16, v22, v13
	s_or_b32 s0, s1, s0
	v_add_co_ci_u32_e64 v2, s0, 0, v2, s0
	v_cmp_ne_u32_e64 s2, v16, v21
	v_add_nc_u32_e32 v16, 0xfffffc10, v23
	v_cmp_ne_u32_e64 s0, 0, v20
	v_cndmask_b32_e64 v14, 0, 1, s2
	v_lshl_or_b32 v18, v16, 12, v9
	v_cndmask_b32_e64 v20, 0, 1, s0
	v_cmp_gt_i32_e64 s0, 1, v16
	v_and_or_b32 v7, 0x1ff, v8, v7
	v_or_b32_e32 v17, v13, v14
	v_cvt_f64_f32_e32 v[13:14], v5
	v_bfe_u32 v21, v8, 20, 11
	v_cndmask_b32_e64 v5, v18, v17, s0
	v_cmp_gt_i32_e64 s0, 31, v19
	v_lshl_or_b32 v17, v20, 9, 0x7c00
	v_lshrrev_b32_e32 v20, 8, v8
	v_lshrrev_b32_e32 v8, 16, v8
	v_and_b32_e32 v18, 7, v5
	v_cndmask_b32_e64 v2, 0x7c00, v2, s0
	v_cmp_ne_u32_e64 s0, 0, v7
	v_lshrrev_b32_e32 v5, 2, v5
	v_cmp_eq_u32_e64 s1, 3, v18
	v_cndmask_b32_e64 v7, 0, 1, s0
	v_cmp_eq_u32_e64 s0, 0x40f, v19
	v_and_or_b32 v7, 0xffe, v20, v7
	v_cndmask_b32_e64 v2, v2, v17, s0
	v_cmp_lt_i32_e64 s0, 5, v18
	v_mul_f64 v[13:14], v[13:14], s[4:5]
	v_sub_nc_u32_e32 v17, 0x3f1, v21
	v_or_b32_e32 v19, 0x1000, v7
	v_lshrrev_b32_e32 v18, 16, v1
	s_or_b32 s0, s1, s0
	v_and_or_b32 v2, 0x8000, v15, v2
	v_add_co_ci_u32_e64 v5, s0, 0, v5, s0
	v_med3_i32 v17, v17, 0, 13
	v_cmp_ne_u32_e64 s0, 0, v9
	v_mul_f16_sdwa v20, v117, v18 dst_sel:DWORD dst_unused:UNUSED_PAD src0_sel:WORD_1 src1_sel:DWORD
	v_and_b32_e32 v2, 0xffff, v2
	v_lshrrev_b32_e32 v22, v17, v19
	v_cndmask_b32_e64 v9, 0, 1, s0
	v_cmp_gt_i32_e64 s0, 31, v16
	v_fmac_f16_e32 v20, v117, v1
	v_mul_f16_sdwa v1, v117, v1 dst_sel:DWORD dst_unused:UNUSED_PAD src0_sel:WORD_1 src1_sel:DWORD
	v_lshlrev_b32_e32 v17, v17, v22
	v_lshl_or_b32 v9, v9, 9, 0x7c00
	v_cndmask_b32_e64 v5, 0x7c00, v5, s0
	v_cmp_eq_u32_e64 s0, 0x40f, v16
	v_and_or_b32 v13, 0x1ff, v14, v13
	v_cvt_f32_f16_e32 v20, v20
	v_lshrrev_b32_e32 v16, 16, v10
	v_fma_f16 v1, v117, v18, -v1
	v_cndmask_b32_e64 v5, v5, v9, s0
	v_cmp_ne_u32_e64 s0, v17, v19
	v_add_nc_u32_e32 v19, 0xfffffc10, v21
	v_cvt_f64_f32_e32 v[9:10], v20
	v_bfe_u32 v20, v14, 20, 11
	v_and_or_b32 v5, 0x8000, v16, v5
	v_cndmask_b32_e64 v17, 0, 1, s0
	v_cmp_ne_u32_e64 s0, 0, v13
	v_lshl_or_b32 v16, v19, 12, v7
	v_lshrrev_b32_e32 v18, 16, v4
	v_lshl_or_b32 v0, v5, 16, v2
	v_or_b32_e32 v15, v22, v17
	v_cndmask_b32_e64 v13, 0, 1, s0
	v_lshrrev_b32_e32 v17, 8, v14
	v_cmp_gt_i32_e64 s0, 1, v19
	v_lshrrev_b32_e32 v14, 16, v14
	v_and_or_b32 v13, 0xffe, v17, v13
	v_cndmask_b32_e64 v15, v16, v15, s0
	v_sub_nc_u32_e32 v16, 0x3f1, v20
	v_add_co_u32 v11, s0, v11, s6
	v_or_b32_e32 v5, 0x1000, v13
	v_and_b32_e32 v2, 7, v15
	v_med3_i32 v16, v16, 0, 13
	v_add_co_ci_u32_e64 v12, s0, s7, v12, s0
	v_mul_f64 v[9:10], v[9:10], s[4:5]
	v_cmp_lt_i32_e64 s0, 5, v2
	v_lshrrev_b32_e32 v17, v16, v5
	v_cmp_eq_u32_e64 s1, 3, v2
	global_store_dword v[11:12], v0, off
	v_lshrrev_b32_e32 v0, 2, v15
	v_lshlrev_b32_e32 v2, v16, v17
	s_or_b32 s0, s1, s0
	v_add_co_ci_u32_e64 v15, s0, 0, v0, s0
	v_cmp_ne_u32_e64 s0, v2, v5
	v_cvt_f32_f16_e32 v0, v1
	v_add_nc_u32_e32 v5, 0xfffffc10, v20
	v_mul_f16_sdwa v20, v116, v18 dst_sel:DWORD dst_unused:UNUSED_PAD src0_sel:WORD_1 src1_sel:DWORD
	v_cndmask_b32_e64 v2, 0, 1, s0
	v_cmp_ne_u32_e64 s0, 0, v7
	v_cvt_f64_f32_e32 v[0:1], v0
	v_lshl_or_b32 v16, v5, 12, v13
	v_fmac_f16_e32 v20, v116, v4
	v_or_b32_e32 v2, v17, v2
	v_cndmask_b32_e64 v7, 0, 1, s0
	v_cmp_gt_i32_e64 s0, 31, v19
	v_and_or_b32 v9, 0x1ff, v10, v9
	v_bfe_u32 v17, v10, 20, 11
	v_mul_f16_sdwa v4, v116, v4 dst_sel:DWORD dst_unused:UNUSED_PAD src0_sel:WORD_1 src1_sel:DWORD
	v_lshl_or_b32 v7, v7, 9, 0x7c00
	v_cndmask_b32_e64 v15, 0x7c00, v15, s0
	v_cmp_gt_i32_e64 s0, 1, v5
	v_cndmask_b32_e64 v2, v16, v2, s0
	v_cmp_ne_u32_e64 s0, 0, v9
	v_lshrrev_b32_e32 v16, 8, v10
	v_lshrrev_b32_e32 v10, 16, v10
	v_cndmask_b32_e64 v9, 0, 1, s0
	v_cmp_eq_u32_e64 s0, 0x40f, v19
	v_mul_f64 v[0:1], v[0:1], s[4:5]
	v_and_or_b32 v9, 0xffe, v16, v9
	v_cndmask_b32_e64 v7, v15, v7, s0
	v_and_b32_e32 v15, 7, v2
	v_sub_nc_u32_e32 v16, 0x3f1, v17
	v_lshrrev_b32_e32 v2, 2, v2
	v_or_b32_e32 v19, 0x1000, v9
	v_add_nc_u32_e32 v17, 0xfffffc10, v17
	v_cmp_lt_i32_e64 s0, 5, v15
	v_cmp_eq_u32_e64 s1, 3, v15
	v_med3_i32 v16, v16, 0, 13
	v_and_or_b32 v15, 0x8000, v8, v7
	v_cvt_f32_f16_e32 v8, v20
	s_or_b32 s0, s1, s0
	v_lshrrev_b32_e32 v21, v16, v19
	v_add_co_ci_u32_e64 v2, s0, 0, v2, s0
	v_cmp_ne_u32_e64 s0, 0, v13
	v_lshlrev_b32_e32 v13, v16, v21
	v_and_or_b32 v0, 0x1ff, v1, v0
	v_cndmask_b32_e64 v7, 0, 1, s0
	v_cmp_gt_i32_e64 s0, 31, v5
	v_lshl_or_b32 v16, v7, 9, 0x7c00
	v_cndmask_b32_e64 v2, 0x7c00, v2, s0
	v_cmp_ne_u32_e64 s0, v13, v19
	v_cvt_f64_f32_e32 v[7:8], v8
	v_bfe_u32 v19, v1, 20, 11
	v_cndmask_b32_e64 v13, 0, 1, s0
	v_cmp_eq_u32_e64 s0, 0x40f, v5
	v_or_b32_e32 v5, v21, v13
	v_cndmask_b32_e64 v2, v2, v16, s0
	v_cmp_ne_u32_e64 s0, 0, v0
	v_lshl_or_b32 v13, v17, 12, v9
	v_lshrrev_b32_e32 v16, 8, v1
	v_and_or_b32 v2, 0x8000, v14, v2
	v_cndmask_b32_e64 v0, 0, 1, s0
	v_cmp_gt_i32_e64 s0, 1, v17
	v_and_b32_e32 v14, 0xffff, v15
	v_and_or_b32 v0, 0xffe, v16, v0
	v_cndmask_b32_e64 v13, v13, v5, s0
	v_sub_nc_u32_e32 v5, 0x3f1, v19
	v_mul_f64 v[7:8], v[7:8], s[4:5]
	v_lshl_or_b32 v14, v2, 16, v14
	v_or_b32_e32 v16, 0x1000, v0
	v_and_b32_e32 v15, 7, v13
	v_med3_i32 v20, v5, 0, 13
	v_cmp_lt_i32_e64 s0, 5, v15
	v_lshrrev_b32_e32 v2, v20, v16
	v_cmp_eq_u32_e64 s1, 3, v15
	v_fma_f16 v15, v116, v18, -v4
	v_add_co_u32 v4, s2, v11, s6
	v_lshrrev_b32_e32 v11, 2, v13
	v_add_co_ci_u32_e64 v5, s2, s7, v12, s2
	v_lshlrev_b32_e32 v12, v20, v2
	s_or_b32 s0, s1, s0
	v_cvt_f32_f16_e32 v13, v15
	v_add_co_ci_u32_e64 v15, s0, 0, v11, s0
	v_cmp_ne_u32_e64 s0, v12, v16
	v_and_or_b32 v7, 0x1ff, v8, v7
	v_cvt_f64_f32_e32 v[11:12], v13
	v_add_nc_u32_e32 v13, 0xfffffc10, v19
	v_lshrrev_b32_e32 v18, 8, v8
	v_cndmask_b32_e64 v16, 0, 1, s0
	v_cmp_gt_i32_e64 s0, 31, v17
	v_bfe_u32 v19, v8, 20, 11
	v_or_b32_e32 v2, v2, v16
	v_cndmask_b32_e64 v15, 0x7c00, v15, s0
	v_cmp_ne_u32_e64 s0, 0, v7
	v_lshl_or_b32 v16, v13, 12, v0
	v_cndmask_b32_e64 v7, 0, 1, s0
	v_cmp_ne_u32_e64 s0, 0, v9
	v_and_or_b32 v7, 0xffe, v18, v7
	v_cndmask_b32_e64 v9, 0, 1, s0
	v_cmp_gt_i32_e64 s0, 1, v13
	v_lshrrev_b32_e32 v18, 16, v3
	v_mul_f64 v[11:12], v[11:12], s[4:5]
	v_or_b32_e32 v21, 0x1000, v7
	v_lshl_or_b32 v9, v9, 9, 0x7c00
	v_cndmask_b32_e64 v2, v16, v2, s0
	v_sub_nc_u32_e32 v16, 0x3f1, v19
	v_cmp_eq_u32_e64 s0, 0x40f, v17
	v_mul_f16_sdwa v22, v115, v18 dst_sel:DWORD dst_unused:UNUSED_PAD src0_sel:WORD_1 src1_sel:DWORD
	v_add_nc_u32_e32 v19, 0xfffffc10, v19
	v_and_b32_e32 v20, 7, v2
	v_med3_i32 v16, v16, 0, 13
	v_cndmask_b32_e64 v9, v15, v9, s0
	v_lshrrev_b32_e32 v2, 2, v2
	v_fmac_f16_e32 v22, v115, v3
	v_cmp_lt_i32_e64 s0, 5, v20
	v_lshrrev_b32_e32 v15, v16, v21
	v_cmp_eq_u32_e64 s1, 3, v20
	v_and_or_b32 v17, 0x8000, v10, v9
	v_cvt_f32_f16_e32 v10, v22
	v_mul_f16_sdwa v3, v115, v3 dst_sel:DWORD dst_unused:UNUSED_PAD src0_sel:WORD_1 src1_sel:DWORD
	v_lshlrev_b32_e32 v9, v16, v15
	s_or_b32 s0, s1, s0
	v_add_co_ci_u32_e64 v2, s0, 0, v2, s0
	v_cmp_ne_u32_e64 s0, v9, v21
	v_cvt_f64_f32_e32 v[9:10], v10
	v_and_or_b32 v11, 0x1ff, v12, v11
	v_bfe_u32 v20, v12, 20, 11
	v_fma_f16 v3, v115, v18, -v3
	v_cndmask_b32_e64 v16, 0, 1, s0
	v_cmp_ne_u32_e64 s0, 0, v0
	v_lshrrev_b32_e32 v18, 16, v8
	v_or_b32_e32 v15, v15, v16
	v_cndmask_b32_e64 v0, 0, 1, s0
	v_cmp_gt_i32_e64 s0, 31, v13
	v_lshl_or_b32 v16, v19, 12, v7
	v_lshl_or_b32 v0, v0, 9, 0x7c00
	v_cndmask_b32_e64 v2, 0x7c00, v2, s0
	v_cmp_gt_i32_e64 s0, 1, v19
	v_cndmask_b32_e64 v15, v16, v15, s0
	v_cmp_ne_u32_e64 s0, 0, v11
	v_lshrrev_b32_e32 v16, 8, v12
	v_and_b32_e32 v21, 7, v15
	v_cndmask_b32_e64 v11, 0, 1, s0
	v_cmp_eq_u32_e64 s0, 0x40f, v13
	v_sub_nc_u32_e32 v13, 0x3f1, v20
	v_cmp_eq_u32_e64 s1, 3, v21
	v_and_or_b32 v11, 0xffe, v16, v11
	v_cndmask_b32_e64 v2, v2, v0, s0
	v_cmp_lt_i32_e64 s0, 5, v21
	v_lshrrev_b32_e32 v16, 16, v1
	v_mul_f64 v[0:1], v[9:10], s[4:5]
	v_med3_i32 v10, v13, 0, 13
	v_lshrrev_b32_e32 v13, 2, v15
	v_or_b32_e32 v9, 0x1000, v11
	s_or_b32 s0, s1, s0
	v_and_or_b32 v2, 0x8000, v16, v2
	v_and_b32_e32 v15, 0xffff, v17
	v_add_co_ci_u32_e64 v13, s0, 0, v13, s0
	v_lshrrev_b32_e32 v16, v10, v9
	v_cmp_ne_u32_e64 s0, 0, v7
	v_lshl_or_b32 v15, v2, 16, v15
	v_lshlrev_b32_e32 v2, v10, v16
	v_cndmask_b32_e64 v7, 0, 1, s0
	v_cmp_gt_i32_e64 s0, 31, v19
	v_lshl_or_b32 v7, v7, 9, 0x7c00
	v_cndmask_b32_e64 v10, 0x7c00, v13, s0
	v_cmp_ne_u32_e64 s0, v2, v9
	v_and_or_b32 v0, 0x1ff, v1, v0
	v_add_nc_u32_e32 v13, 0xfffffc10, v20
	v_bfe_u32 v17, v1, 20, 11
	v_cndmask_b32_e64 v2, 0, 1, s0
	v_cmp_eq_u32_e64 s0, 0x40f, v19
	v_cndmask_b32_e64 v9, v10, v7, s0
	v_cmp_ne_u32_e64 s0, 0, v0
	v_or_b32_e32 v7, v16, v2
	v_cvt_f32_f16_e32 v2, v3
	v_lshl_or_b32 v10, v13, 12, v11
	v_lshrrev_b32_e32 v16, 8, v1
	v_cndmask_b32_e64 v0, 0, 1, s0
	v_cmp_gt_i32_e64 s0, 1, v13
	v_cvt_f64_f32_e32 v[2:3], v2
	v_and_or_b32 v18, 0x8000, v18, v9
	v_lshrrev_b32_e32 v1, 16, v1
	v_and_or_b32 v0, 0xffe, v16, v0
	v_cndmask_b32_e64 v10, v10, v7, s0
	v_sub_nc_u32_e32 v7, 0x3f1, v17
	v_lshrrev_b32_e32 v16, 16, v6
	v_add_nc_u32_e32 v17, 0xfffffc10, v17
	v_or_b32_e32 v20, 0x1000, v0
	v_and_b32_e32 v19, 7, v10
	v_med3_i32 v21, v7, 0, 13
	v_mul_f16_sdwa v22, v114, v16 dst_sel:DWORD dst_unused:UNUSED_PAD src0_sel:WORD_1 src1_sel:DWORD
	v_add_co_u32 v7, s0, v4, s8
	v_add_co_ci_u32_e64 v8, s0, s9, v5, s0
	v_lshrrev_b32_e32 v23, v21, v20
	v_fmac_f16_e32 v22, v114, v6
	v_cmp_lt_i32_e64 s0, 5, v19
	v_cmp_eq_u32_e64 s1, 3, v19
	v_lshrrev_b32_e32 v9, 2, v10
	v_lshlrev_b32_e32 v19, v21, v23
	v_cvt_f32_f16_e32 v10, v22
	v_mul_f64 v[2:3], v[2:3], s[4:5]
	s_or_b32 s0, s1, s0
	v_mul_f16_sdwa v6, v114, v6 dst_sel:DWORD dst_unused:UNUSED_PAD src0_sel:WORD_1 src1_sel:DWORD
	v_add_co_ci_u32_e64 v21, s0, 0, v9, s0
	v_cmp_ne_u32_e64 s0, v19, v20
	v_cvt_f64_f32_e32 v[9:10], v10
	v_lshl_or_b32 v20, v17, 12, v0
	v_fma_f16 v6, v114, v16, -v6
	v_cndmask_b32_e64 v19, 0, 1, s0
	v_cmp_ne_u32_e64 s0, 0, v11
	v_cvt_f32_f16_e32 v6, v6
	v_or_b32_e32 v19, v23, v19
	v_cndmask_b32_e64 v11, 0, 1, s0
	v_cmp_gt_i32_e64 s0, 31, v13
	v_lshl_or_b32 v11, v11, 9, 0x7c00
	v_cndmask_b32_e64 v16, 0x7c00, v21, s0
	v_cmp_gt_i32_e64 s0, 1, v17
	v_and_or_b32 v2, 0x1ff, v3, v2
	v_bfe_u32 v21, v3, 20, 11
	v_cndmask_b32_e64 v19, v20, v19, s0
	v_cmp_eq_u32_e64 s0, 0x40f, v13
	v_mul_f64 v[9:10], v[9:10], s[4:5]
	v_lshrrev_b32_e32 v20, 8, v3
	v_lshrrev_b32_e32 v3, 16, v3
	v_cndmask_b32_e64 v13, v16, v11, s0
	v_lshrrev_b32_e32 v16, 16, v12
	v_cvt_f64_f32_e32 v[11:12], v6
	v_cmp_ne_u32_e64 s0, 0, v2
	v_and_b32_e32 v6, 7, v19
	v_and_or_b32 v13, 0x8000, v16, v13
	v_and_b32_e32 v16, 0xffff, v18
	v_cndmask_b32_e64 v2, 0, 1, s0
	v_cmp_lt_i32_e64 s0, 5, v6
	v_cmp_eq_u32_e64 s1, 3, v6
	v_sub_nc_u32_e32 v18, 0x3f1, v21
	v_lshl_or_b32 v6, v13, 16, v16
	v_lshrrev_b32_e32 v13, 2, v19
	v_and_or_b32 v2, 0xffe, v20, v2
	s_or_b32 s0, s1, s0
	v_med3_i32 v18, v18, 0, 13
	v_add_co_ci_u32_e64 v13, s0, 0, v13, s0
	v_or_b32_e32 v16, 0x1000, v2
	v_cmp_ne_u32_e64 s0, 0, v0
	v_and_or_b32 v9, 0x1ff, v10, v9
	v_lshrrev_b32_e32 v20, 8, v10
	v_mul_f64 v[11:12], v[11:12], s[4:5]
	v_lshrrev_b32_e32 v19, v18, v16
	v_cndmask_b32_e64 v0, 0, 1, s0
	v_cmp_gt_i32_e64 s0, 31, v17
	v_bfe_u32 v22, v10, 20, 11
	v_lshrrev_b32_e32 v10, 16, v10
	v_lshlrev_b32_e32 v18, v18, v19
	v_lshl_or_b32 v0, v0, 9, 0x7c00
	v_cndmask_b32_e64 v13, 0x7c00, v13, s0
	v_cmp_ne_u32_e64 s0, 0, v9
	v_cndmask_b32_e64 v9, 0, 1, s0
	v_cmp_ne_u32_e64 s0, v18, v16
	v_add_nc_u32_e32 v18, 0xfffffc10, v21
	v_and_or_b32 v9, 0xffe, v20, v9
	v_cndmask_b32_e64 v16, 0, 1, s0
	v_sub_nc_u32_e32 v20, 0x3f1, v22
	v_cmp_eq_u32_e64 s0, 0x40f, v17
	v_and_or_b32 v11, 0x1ff, v12, v11
	v_or_b32_e32 v17, 0x1000, v9
	v_bfe_u32 v21, v12, 20, 11
	v_cndmask_b32_e64 v0, v13, v0, s0
	v_or_b32_e32 v13, v19, v16
	v_lshl_or_b32 v16, v18, 12, v2
	v_med3_i32 v19, v20, 0, 13
	v_cmp_gt_i32_e64 s0, 1, v18
	v_lshrrev_b32_e32 v20, 8, v12
	v_and_or_b32 v0, 0x8000, v1, v0
	v_cndmask_b32_e64 v13, v16, v13, s0
	v_lshrrev_b32_e32 v16, v19, v17
	v_cmp_ne_u32_e64 s0, 0, v11
	v_and_b32_e32 v0, 0xffff, v0
	v_and_b32_e32 v23, 7, v13
	v_lshlrev_b32_e32 v19, v19, v16
	v_cndmask_b32_e64 v11, 0, 1, s0
	v_lshrrev_b32_e32 v13, 2, v13
	v_cmp_lt_i32_e64 s0, 5, v23
	v_cmp_ne_u32_e64 s1, v19, v17
	v_and_or_b32 v1, 0xffe, v20, v11
	v_sub_nc_u32_e32 v11, 0x3f1, v21
	v_add_nc_u32_e32 v20, 0xfffffc10, v22
	v_cndmask_b32_e64 v17, 0, 1, s1
	v_cmp_eq_u32_e64 s1, 3, v23
	v_or_b32_e32 v19, 0x1000, v1
	v_med3_i32 v11, v11, 0, 13
	v_lshl_or_b32 v22, v20, 12, v9
	v_or_b32_e32 v16, v16, v17
	s_or_b32 s0, s1, s0
	v_add_co_ci_u32_e64 v13, s0, 0, v13, s0
	v_lshrrev_b32_e32 v17, v11, v19
	v_cmp_gt_i32_e64 s0, 1, v20
	v_lshlrev_b32_e32 v11, v11, v17
	v_cndmask_b32_e64 v16, v22, v16, s0
	v_cmp_ne_u32_e64 s0, 0, v2
	v_cndmask_b32_e64 v2, 0, 1, s0
	v_cmp_ne_u32_e64 s0, v11, v19
	v_add_nc_u32_e32 v19, 0xfffffc10, v21
	v_and_b32_e32 v21, 7, v16
	v_lshl_or_b32 v2, v2, 9, 0x7c00
	v_cndmask_b32_e64 v11, 0, 1, s0
	v_cmp_gt_i32_e64 s0, 31, v18
	v_cmp_gt_i32_e64 s2, 1, v19
	v_cmp_eq_u32_e64 s1, 3, v21
	v_or_b32_e32 v11, v17, v11
	v_lshl_or_b32 v17, v19, 12, v1
	v_cndmask_b32_e64 v13, 0x7c00, v13, s0
	v_cmp_lt_i32_e64 s0, 5, v21
	v_cndmask_b32_e64 v11, v17, v11, s2
	v_cmp_eq_u32_e64 s2, 0x40f, v18
	s_or_b32 s0, s1, s0
	v_cndmask_b32_e64 v2, v13, v2, s2
	v_lshrrev_b32_e32 v13, 2, v16
	v_and_b32_e32 v16, 7, v11
	v_lshrrev_b32_e32 v11, 2, v11
	v_cmp_gt_i32_e64 s2, 31, v20
	v_add_co_ci_u32_e64 v13, s0, 0, v13, s0
	v_cmp_ne_u32_e64 s0, 0, v9
	v_cmp_eq_u32_e64 s1, 3, v16
	v_cndmask_b32_e64 v13, 0x7c00, v13, s2
	v_cndmask_b32_e64 v9, 0, 1, s0
	v_cmp_lt_i32_e64 s0, 5, v16
	v_lshl_or_b32 v9, v9, 9, 0x7c00
	s_or_b32 s0, s1, s0
	v_add_co_ci_u32_e64 v11, s0, 0, v11, s0
	v_cmp_ne_u32_e64 s0, 0, v1
	v_cndmask_b32_e64 v1, 0, 1, s0
	v_cmp_eq_u32_e64 s0, 0x40f, v20
	v_lshl_or_b32 v1, v1, 9, 0x7c00
	v_cndmask_b32_e64 v9, v13, v9, s0
	v_cmp_gt_i32_e64 s0, 31, v19
	v_and_or_b32 v13, 0x8000, v3, v2
	v_and_or_b32 v9, 0x8000, v10, v9
	v_cndmask_b32_e64 v11, 0x7c00, v11, s0
	v_cmp_eq_u32_e64 s0, 0x40f, v19
	v_lshrrev_b32_e32 v10, 16, v12
	v_cndmask_b32_e64 v1, v11, v1, s0
	v_add_co_u32 v2, s0, v7, s6
	v_add_co_ci_u32_e64 v3, s0, s7, v8, s0
	v_lshl_or_b32 v11, v13, 16, v0
	v_and_or_b32 v0, 0x8000, v10, v1
	v_and_b32_e32 v1, 0xffff, v9
	v_add_co_u32 v9, s0, v2, s6
	v_add_co_ci_u32_e64 v10, s0, s7, v3, s0
	v_lshl_or_b32 v12, v0, 16, v1
	v_add_co_u32 v0, s0, v9, s6
	v_add_co_ci_u32_e64 v1, s0, s7, v10, s0
	global_store_dword v[4:5], v14, off
	global_store_dword v[7:8], v15, off
	;; [unrolled: 1-line block ×5, first 2 shown]
	s_and_b32 exec_lo, exec_lo, vcc_lo
	s_cbranch_execz .LBB0_31
; %bb.30:
	global_load_dword v2, v[82:83], off offset:512
	ds_read_b32 v3, v113 offset:10752
	ds_read_b32 v6, v113 offset:21952
	;; [unrolled: 1-line block ×3, first 2 shown]
	s_waitcnt lgkmcnt(2)
	v_lshrrev_b32_e32 v4, 16, v3
	s_waitcnt vmcnt(0)
	v_mul_f16_sdwa v5, v4, v2 dst_sel:DWORD dst_unused:UNUSED_PAD src0_sel:DWORD src1_sel:WORD_1
	v_mul_f16_sdwa v8, v3, v2 dst_sel:DWORD dst_unused:UNUSED_PAD src0_sel:DWORD src1_sel:WORD_1
	v_fmac_f16_e32 v5, v3, v2
	v_fma_f16 v2, v2, v4, -v8
	v_cvt_f32_f16_e32 v3, v5
	v_cvt_f32_f16_e32 v4, v2
	v_cvt_f64_f32_e32 v[2:3], v3
	v_cvt_f64_f32_e32 v[4:5], v4
	v_mul_f64 v[2:3], v[2:3], s[4:5]
	v_mul_f64 v[4:5], v[4:5], s[4:5]
	v_and_or_b32 v2, 0x1ff, v3, v2
	v_and_or_b32 v4, 0x1ff, v5, v4
	v_lshrrev_b32_e32 v8, 8, v3
	v_bfe_u32 v9, v3, 20, 11
	v_lshrrev_b32_e32 v10, 8, v5
	v_cmp_ne_u32_e32 vcc_lo, 0, v2
	v_bfe_u32 v11, v5, 20, 11
	v_lshrrev_b32_e32 v3, 16, v3
	v_sub_nc_u32_e32 v12, 0x3f1, v9
	v_add_nc_u32_e32 v9, 0xfffffc10, v9
	v_cndmask_b32_e64 v2, 0, 1, vcc_lo
	v_cmp_ne_u32_e32 vcc_lo, 0, v4
	v_lshrrev_b32_e32 v5, 16, v5
	v_and_or_b32 v2, 0xffe, v8, v2
	v_cndmask_b32_e64 v4, 0, 1, vcc_lo
	v_sub_nc_u32_e32 v8, 0x3f1, v11
	v_add_nc_u32_e32 v11, 0xfffffc10, v11
	v_and_or_b32 v4, 0xffe, v10, v4
	v_med3_i32 v10, v12, 0, 13
	v_or_b32_e32 v12, 0x1000, v2
	v_med3_i32 v8, v8, 0, 13
	v_or_b32_e32 v13, 0x1000, v4
	v_lshrrev_b32_e32 v14, v10, v12
	v_lshrrev_b32_e32 v15, v8, v13
	v_lshlrev_b32_e32 v10, v10, v14
	v_lshlrev_b32_e32 v8, v8, v15
	v_cmp_ne_u32_e32 vcc_lo, v10, v12
	v_lshl_or_b32 v12, v9, 12, v2
	v_cndmask_b32_e64 v10, 0, 1, vcc_lo
	v_cmp_ne_u32_e32 vcc_lo, v8, v13
	v_lshl_or_b32 v13, v11, 12, v4
	v_or_b32_e32 v10, v14, v10
	v_cndmask_b32_e64 v8, 0, 1, vcc_lo
	v_cmp_gt_i32_e32 vcc_lo, 1, v9
	v_or_b32_e32 v8, v15, v8
	v_cndmask_b32_e32 v10, v12, v10, vcc_lo
	v_cmp_gt_i32_e32 vcc_lo, 1, v11
	v_and_b32_e32 v12, 7, v10
	v_cndmask_b32_e32 v8, v13, v8, vcc_lo
	v_cmp_ne_u32_e32 vcc_lo, 0, v2
	v_lshrrev_b32_e32 v10, 2, v10
	v_cmp_eq_u32_e64 s0, 3, v12
	v_and_b32_e32 v13, 7, v8
	v_cndmask_b32_e64 v2, 0, 1, vcc_lo
	v_cmp_ne_u32_e32 vcc_lo, 0, v4
	v_lshrrev_b32_e32 v8, 2, v8
	v_cmp_lt_i32_e64 s1, 5, v13
	v_cmp_eq_u32_e64 s2, 3, v13
	v_cndmask_b32_e64 v4, 0, 1, vcc_lo
	v_cmp_lt_i32_e32 vcc_lo, 5, v12
	v_lshl_or_b32 v2, v2, 9, 0x7c00
	v_lshl_or_b32 v4, v4, 9, 0x7c00
	s_or_b32 vcc_lo, s0, vcc_lo
	v_add_co_ci_u32_e32 v10, vcc_lo, 0, v10, vcc_lo
	s_or_b32 vcc_lo, s2, s1
	v_add_co_ci_u32_e32 v8, vcc_lo, 0, v8, vcc_lo
	v_cmp_gt_i32_e32 vcc_lo, 31, v9
	v_cndmask_b32_e32 v10, 0x7c00, v10, vcc_lo
	v_cmp_gt_i32_e32 vcc_lo, 31, v11
	v_cndmask_b32_e32 v8, 0x7c00, v8, vcc_lo
	v_cmp_eq_u32_e32 vcc_lo, 0x40f, v9
	v_cndmask_b32_e32 v2, v10, v2, vcc_lo
	v_cmp_eq_u32_e32 vcc_lo, 0x40f, v11
	v_and_or_b32 v2, 0x8000, v3, v2
	v_cndmask_b32_e32 v4, v8, v4, vcc_lo
	v_add_co_u32 v0, vcc_lo, v0, s8
	v_add_co_ci_u32_e32 v1, vcc_lo, s9, v1, vcc_lo
	v_and_or_b32 v3, 0x8000, v5, v4
	v_and_b32_e32 v2, 0xffff, v2
	v_lshl_or_b32 v2, v3, 16, v2
	s_waitcnt lgkmcnt(1)
	v_lshrrev_b32_e32 v3, 16, v6
	global_store_dword v[0:1], v2, off
	global_load_dword v2, v[80:81], off offset:1472
	s_waitcnt vmcnt(0)
	v_mul_f16_sdwa v4, v3, v2 dst_sel:DWORD dst_unused:UNUSED_PAD src0_sel:DWORD src1_sel:WORD_1
	v_mul_f16_sdwa v5, v6, v2 dst_sel:DWORD dst_unused:UNUSED_PAD src0_sel:DWORD src1_sel:WORD_1
	v_fmac_f16_e32 v4, v6, v2
	v_fma_f16 v2, v2, v3, -v5
	v_cvt_f32_f16_e32 v3, v4
	v_cvt_f32_f16_e32 v4, v2
	v_cvt_f64_f32_e32 v[2:3], v3
	v_cvt_f64_f32_e32 v[4:5], v4
	v_mul_f64 v[2:3], v[2:3], s[4:5]
	v_mul_f64 v[4:5], v[4:5], s[4:5]
	v_and_or_b32 v2, 0x1ff, v3, v2
	v_and_or_b32 v4, 0x1ff, v5, v4
	v_lshrrev_b32_e32 v6, 8, v3
	v_bfe_u32 v8, v3, 20, 11
	v_lshrrev_b32_e32 v9, 8, v5
	v_cmp_ne_u32_e32 vcc_lo, 0, v2
	v_bfe_u32 v10, v5, 20, 11
	v_lshrrev_b32_e32 v3, 16, v3
	v_sub_nc_u32_e32 v11, 0x3f1, v8
	v_add_nc_u32_e32 v8, 0xfffffc10, v8
	v_cndmask_b32_e64 v2, 0, 1, vcc_lo
	v_cmp_ne_u32_e32 vcc_lo, 0, v4
	v_lshrrev_b32_e32 v5, 16, v5
	v_and_or_b32 v2, 0xffe, v6, v2
	v_cndmask_b32_e64 v4, 0, 1, vcc_lo
	v_sub_nc_u32_e32 v6, 0x3f1, v10
	v_add_nc_u32_e32 v10, 0xfffffc10, v10
	v_and_or_b32 v4, 0xffe, v9, v4
	v_med3_i32 v9, v11, 0, 13
	v_or_b32_e32 v11, 0x1000, v2
	v_med3_i32 v6, v6, 0, 13
	v_or_b32_e32 v12, 0x1000, v4
	v_lshrrev_b32_e32 v13, v9, v11
	v_lshrrev_b32_e32 v14, v6, v12
	v_lshlrev_b32_e32 v9, v9, v13
	v_lshlrev_b32_e32 v6, v6, v14
	v_cmp_ne_u32_e32 vcc_lo, v9, v11
	v_lshl_or_b32 v11, v8, 12, v2
	v_cndmask_b32_e64 v9, 0, 1, vcc_lo
	v_cmp_ne_u32_e32 vcc_lo, v6, v12
	v_lshl_or_b32 v12, v10, 12, v4
	v_or_b32_e32 v9, v13, v9
	v_cndmask_b32_e64 v6, 0, 1, vcc_lo
	v_cmp_gt_i32_e32 vcc_lo, 1, v8
	v_or_b32_e32 v6, v14, v6
	v_cndmask_b32_e32 v9, v11, v9, vcc_lo
	v_cmp_gt_i32_e32 vcc_lo, 1, v10
	v_and_b32_e32 v11, 7, v9
	v_cndmask_b32_e32 v6, v12, v6, vcc_lo
	v_cmp_ne_u32_e32 vcc_lo, 0, v2
	v_lshrrev_b32_e32 v9, 2, v9
	v_cmp_eq_u32_e64 s0, 3, v11
	v_and_b32_e32 v12, 7, v6
	v_cndmask_b32_e64 v2, 0, 1, vcc_lo
	v_cmp_ne_u32_e32 vcc_lo, 0, v4
	v_lshrrev_b32_e32 v6, 2, v6
	v_cmp_lt_i32_e64 s1, 5, v12
	v_cmp_eq_u32_e64 s2, 3, v12
	v_cndmask_b32_e64 v4, 0, 1, vcc_lo
	v_cmp_lt_i32_e32 vcc_lo, 5, v11
	v_lshl_or_b32 v2, v2, 9, 0x7c00
	v_lshl_or_b32 v4, v4, 9, 0x7c00
	s_or_b32 vcc_lo, s0, vcc_lo
	v_add_co_ci_u32_e32 v9, vcc_lo, 0, v9, vcc_lo
	s_or_b32 vcc_lo, s2, s1
	v_add_co_ci_u32_e32 v6, vcc_lo, 0, v6, vcc_lo
	v_cmp_gt_i32_e32 vcc_lo, 31, v8
	v_cndmask_b32_e32 v9, 0x7c00, v9, vcc_lo
	v_cmp_gt_i32_e32 vcc_lo, 31, v10
	v_cndmask_b32_e32 v6, 0x7c00, v6, vcc_lo
	v_cmp_eq_u32_e32 vcc_lo, 0x40f, v8
	v_cndmask_b32_e32 v2, v9, v2, vcc_lo
	v_cmp_eq_u32_e32 vcc_lo, 0x40f, v10
	v_and_or_b32 v2, 0x8000, v3, v2
	v_cndmask_b32_e32 v4, v6, v4, vcc_lo
	v_add_co_u32 v0, vcc_lo, v0, s6
	v_add_co_ci_u32_e32 v1, vcc_lo, s7, v1, vcc_lo
	v_and_or_b32 v3, 0x8000, v5, v4
	v_and_b32_e32 v2, 0xffff, v2
	v_lshl_or_b32 v2, v3, 16, v2
	ds_read_b32 v3, v113 offset:33152
	global_store_dword v[0:1], v2, off
	global_load_dword v2, v[78:79], off offset:384
	s_waitcnt lgkmcnt(0)
	v_lshrrev_b32_e32 v4, 16, v3
	s_waitcnt vmcnt(0)
	v_mul_f16_sdwa v5, v4, v2 dst_sel:DWORD dst_unused:UNUSED_PAD src0_sel:DWORD src1_sel:WORD_1
	v_mul_f16_sdwa v6, v3, v2 dst_sel:DWORD dst_unused:UNUSED_PAD src0_sel:DWORD src1_sel:WORD_1
	v_fmac_f16_e32 v5, v3, v2
	v_fma_f16 v2, v2, v4, -v6
	v_cvt_f32_f16_e32 v3, v5
	v_cvt_f32_f16_e32 v4, v2
	v_cvt_f64_f32_e32 v[2:3], v3
	v_cvt_f64_f32_e32 v[4:5], v4
	v_mul_f64 v[2:3], v[2:3], s[4:5]
	v_mul_f64 v[4:5], v[4:5], s[4:5]
	v_and_or_b32 v2, 0x1ff, v3, v2
	v_and_or_b32 v4, 0x1ff, v5, v4
	v_lshrrev_b32_e32 v6, 8, v3
	v_bfe_u32 v8, v3, 20, 11
	v_lshrrev_b32_e32 v9, 8, v5
	v_cmp_ne_u32_e32 vcc_lo, 0, v2
	v_bfe_u32 v10, v5, 20, 11
	v_lshrrev_b32_e32 v3, 16, v3
	v_sub_nc_u32_e32 v11, 0x3f1, v8
	v_add_nc_u32_e32 v8, 0xfffffc10, v8
	v_cndmask_b32_e64 v2, 0, 1, vcc_lo
	v_cmp_ne_u32_e32 vcc_lo, 0, v4
	v_lshrrev_b32_e32 v5, 16, v5
	v_and_or_b32 v2, 0xffe, v6, v2
	v_cndmask_b32_e64 v4, 0, 1, vcc_lo
	v_sub_nc_u32_e32 v6, 0x3f1, v10
	v_add_nc_u32_e32 v10, 0xfffffc10, v10
	v_and_or_b32 v4, 0xffe, v9, v4
	v_med3_i32 v9, v11, 0, 13
	v_or_b32_e32 v11, 0x1000, v2
	v_med3_i32 v6, v6, 0, 13
	v_or_b32_e32 v12, 0x1000, v4
	v_lshrrev_b32_e32 v13, v9, v11
	v_lshrrev_b32_e32 v14, v6, v12
	v_lshlrev_b32_e32 v9, v9, v13
	v_lshlrev_b32_e32 v6, v6, v14
	v_cmp_ne_u32_e32 vcc_lo, v9, v11
	v_lshl_or_b32 v11, v8, 12, v2
	v_cndmask_b32_e64 v9, 0, 1, vcc_lo
	v_cmp_ne_u32_e32 vcc_lo, v6, v12
	v_lshl_or_b32 v12, v10, 12, v4
	v_or_b32_e32 v9, v13, v9
	v_cndmask_b32_e64 v6, 0, 1, vcc_lo
	v_cmp_gt_i32_e32 vcc_lo, 1, v8
	v_or_b32_e32 v6, v14, v6
	v_cndmask_b32_e32 v9, v11, v9, vcc_lo
	v_cmp_gt_i32_e32 vcc_lo, 1, v10
	v_and_b32_e32 v11, 7, v9
	v_cndmask_b32_e32 v6, v12, v6, vcc_lo
	v_cmp_ne_u32_e32 vcc_lo, 0, v2
	v_lshrrev_b32_e32 v9, 2, v9
	v_cmp_eq_u32_e64 s0, 3, v11
	v_and_b32_e32 v12, 7, v6
	v_cndmask_b32_e64 v2, 0, 1, vcc_lo
	v_cmp_ne_u32_e32 vcc_lo, 0, v4
	v_lshrrev_b32_e32 v6, 2, v6
	v_cmp_lt_i32_e64 s1, 5, v12
	v_cmp_eq_u32_e64 s2, 3, v12
	v_cndmask_b32_e64 v4, 0, 1, vcc_lo
	v_cmp_lt_i32_e32 vcc_lo, 5, v11
	v_lshl_or_b32 v2, v2, 9, 0x7c00
	v_lshl_or_b32 v4, v4, 9, 0x7c00
	s_or_b32 vcc_lo, s0, vcc_lo
	v_add_co_ci_u32_e32 v9, vcc_lo, 0, v9, vcc_lo
	s_or_b32 vcc_lo, s2, s1
	v_add_co_ci_u32_e32 v6, vcc_lo, 0, v6, vcc_lo
	v_cmp_gt_i32_e32 vcc_lo, 31, v8
	v_cndmask_b32_e32 v9, 0x7c00, v9, vcc_lo
	v_cmp_gt_i32_e32 vcc_lo, 31, v10
	v_cndmask_b32_e32 v6, 0x7c00, v6, vcc_lo
	v_cmp_eq_u32_e32 vcc_lo, 0x40f, v8
	v_cndmask_b32_e32 v2, v9, v2, vcc_lo
	v_cmp_eq_u32_e32 vcc_lo, 0x40f, v10
	v_and_or_b32 v2, 0x8000, v3, v2
	v_cndmask_b32_e32 v4, v6, v4, vcc_lo
	v_add_co_u32 v0, vcc_lo, v0, s6
	v_add_co_ci_u32_e32 v1, vcc_lo, s7, v1, vcc_lo
	v_and_or_b32 v3, 0x8000, v5, v4
	v_and_b32_e32 v2, 0xffff, v2
	v_lshl_or_b32 v2, v3, 16, v2
	v_lshrrev_b32_e32 v3, 16, v7
	global_store_dword v[0:1], v2, off
	global_load_dword v2, v[85:86], off offset:1344
	s_waitcnt vmcnt(0)
	v_mul_f16_sdwa v4, v3, v2 dst_sel:DWORD dst_unused:UNUSED_PAD src0_sel:DWORD src1_sel:WORD_1
	v_mul_f16_sdwa v5, v7, v2 dst_sel:DWORD dst_unused:UNUSED_PAD src0_sel:DWORD src1_sel:WORD_1
	v_fmac_f16_e32 v4, v7, v2
	v_fma_f16 v2, v2, v3, -v5
	v_cvt_f32_f16_e32 v3, v4
	v_cvt_f32_f16_e32 v4, v2
	v_cvt_f64_f32_e32 v[2:3], v3
	v_cvt_f64_f32_e32 v[4:5], v4
	v_mul_f64 v[2:3], v[2:3], s[4:5]
	v_mul_f64 v[4:5], v[4:5], s[4:5]
	v_and_or_b32 v2, 0x1ff, v3, v2
	v_and_or_b32 v4, 0x1ff, v5, v4
	v_lshrrev_b32_e32 v6, 8, v3
	v_bfe_u32 v7, v3, 20, 11
	v_lshrrev_b32_e32 v8, 8, v5
	v_cmp_ne_u32_e32 vcc_lo, 0, v2
	v_bfe_u32 v9, v5, 20, 11
	v_lshrrev_b32_e32 v3, 16, v3
	v_sub_nc_u32_e32 v10, 0x3f1, v7
	v_add_nc_u32_e32 v7, 0xfffffc10, v7
	v_cndmask_b32_e64 v2, 0, 1, vcc_lo
	v_cmp_ne_u32_e32 vcc_lo, 0, v4
	v_lshrrev_b32_e32 v5, 16, v5
	v_and_or_b32 v2, 0xffe, v6, v2
	v_cndmask_b32_e64 v4, 0, 1, vcc_lo
	v_sub_nc_u32_e32 v6, 0x3f1, v9
	v_add_nc_u32_e32 v9, 0xfffffc10, v9
	v_and_or_b32 v4, 0xffe, v8, v4
	v_med3_i32 v8, v10, 0, 13
	v_or_b32_e32 v10, 0x1000, v2
	v_med3_i32 v6, v6, 0, 13
	v_or_b32_e32 v11, 0x1000, v4
	v_lshrrev_b32_e32 v12, v8, v10
	v_lshrrev_b32_e32 v13, v6, v11
	v_lshlrev_b32_e32 v8, v8, v12
	v_lshlrev_b32_e32 v6, v6, v13
	v_cmp_ne_u32_e32 vcc_lo, v8, v10
	v_lshl_or_b32 v10, v7, 12, v2
	v_cndmask_b32_e64 v8, 0, 1, vcc_lo
	v_cmp_ne_u32_e32 vcc_lo, v6, v11
	v_lshl_or_b32 v11, v9, 12, v4
	v_or_b32_e32 v8, v12, v8
	v_cndmask_b32_e64 v6, 0, 1, vcc_lo
	v_cmp_gt_i32_e32 vcc_lo, 1, v7
	v_or_b32_e32 v6, v13, v6
	v_cndmask_b32_e32 v8, v10, v8, vcc_lo
	v_cmp_gt_i32_e32 vcc_lo, 1, v9
	v_and_b32_e32 v10, 7, v8
	v_cndmask_b32_e32 v6, v11, v6, vcc_lo
	v_cmp_ne_u32_e32 vcc_lo, 0, v2
	v_lshrrev_b32_e32 v8, 2, v8
	v_cmp_eq_u32_e64 s0, 3, v10
	v_and_b32_e32 v11, 7, v6
	v_cndmask_b32_e64 v2, 0, 1, vcc_lo
	v_cmp_ne_u32_e32 vcc_lo, 0, v4
	v_lshrrev_b32_e32 v6, 2, v6
	v_cmp_lt_i32_e64 s1, 5, v11
	v_cmp_eq_u32_e64 s2, 3, v11
	v_cndmask_b32_e64 v4, 0, 1, vcc_lo
	v_cmp_lt_i32_e32 vcc_lo, 5, v10
	v_lshl_or_b32 v2, v2, 9, 0x7c00
	v_lshl_or_b32 v4, v4, 9, 0x7c00
	s_or_b32 vcc_lo, s0, vcc_lo
	v_add_co_ci_u32_e32 v8, vcc_lo, 0, v8, vcc_lo
	s_or_b32 vcc_lo, s2, s1
	v_add_co_ci_u32_e32 v6, vcc_lo, 0, v6, vcc_lo
	v_cmp_gt_i32_e32 vcc_lo, 31, v7
	v_cndmask_b32_e32 v8, 0x7c00, v8, vcc_lo
	v_cmp_gt_i32_e32 vcc_lo, 31, v9
	v_cndmask_b32_e32 v6, 0x7c00, v6, vcc_lo
	v_cmp_eq_u32_e32 vcc_lo, 0x40f, v7
	v_cndmask_b32_e32 v2, v8, v2, vcc_lo
	v_cmp_eq_u32_e32 vcc_lo, 0x40f, v9
	v_and_or_b32 v2, 0x8000, v3, v2
	v_cndmask_b32_e32 v4, v6, v4, vcc_lo
	v_add_co_u32 v0, vcc_lo, v0, s6
	v_add_co_ci_u32_e32 v1, vcc_lo, s7, v1, vcc_lo
	v_and_or_b32 v3, 0x8000, v5, v4
	v_and_b32_e32 v2, 0xffff, v2
	v_lshl_or_b32 v2, v3, 16, v2
	global_store_dword v[0:1], v2, off
.LBB0_31:
	s_endpgm
	.section	.rodata,"a",@progbits
	.p2align	6, 0x0
	.amdhsa_kernel bluestein_single_fwd_len11200_dim1_half_op_CI_CI
		.amdhsa_group_segment_fixed_size 44800
		.amdhsa_private_segment_fixed_size 0
		.amdhsa_kernarg_size 104
		.amdhsa_user_sgpr_count 6
		.amdhsa_user_sgpr_private_segment_buffer 1
		.amdhsa_user_sgpr_dispatch_ptr 0
		.amdhsa_user_sgpr_queue_ptr 0
		.amdhsa_user_sgpr_kernarg_segment_ptr 1
		.amdhsa_user_sgpr_dispatch_id 0
		.amdhsa_user_sgpr_flat_scratch_init 0
		.amdhsa_user_sgpr_private_segment_size 0
		.amdhsa_wavefront_size32 1
		.amdhsa_uses_dynamic_stack 0
		.amdhsa_system_sgpr_private_segment_wavefront_offset 0
		.amdhsa_system_sgpr_workgroup_id_x 1
		.amdhsa_system_sgpr_workgroup_id_y 0
		.amdhsa_system_sgpr_workgroup_id_z 0
		.amdhsa_system_sgpr_workgroup_info 0
		.amdhsa_system_vgpr_workitem_id 0
		.amdhsa_next_free_vgpr 253
		.amdhsa_next_free_sgpr 16
		.amdhsa_reserve_vcc 1
		.amdhsa_reserve_flat_scratch 0
		.amdhsa_float_round_mode_32 0
		.amdhsa_float_round_mode_16_64 0
		.amdhsa_float_denorm_mode_32 3
		.amdhsa_float_denorm_mode_16_64 3
		.amdhsa_dx10_clamp 1
		.amdhsa_ieee_mode 1
		.amdhsa_fp16_overflow 0
		.amdhsa_workgroup_processor_mode 1
		.amdhsa_memory_ordered 1
		.amdhsa_forward_progress 0
		.amdhsa_shared_vgpr_count 0
		.amdhsa_exception_fp_ieee_invalid_op 0
		.amdhsa_exception_fp_denorm_src 0
		.amdhsa_exception_fp_ieee_div_zero 0
		.amdhsa_exception_fp_ieee_overflow 0
		.amdhsa_exception_fp_ieee_underflow 0
		.amdhsa_exception_fp_ieee_inexact 0
		.amdhsa_exception_int_div_zero 0
	.end_amdhsa_kernel
	.text
.Lfunc_end0:
	.size	bluestein_single_fwd_len11200_dim1_half_op_CI_CI, .Lfunc_end0-bluestein_single_fwd_len11200_dim1_half_op_CI_CI
                                        ; -- End function
	.section	.AMDGPU.csdata,"",@progbits
; Kernel info:
; codeLenInByte = 51368
; NumSgprs: 18
; NumVgprs: 253
; ScratchSize: 0
; MemoryBound: 0
; FloatMode: 240
; IeeeMode: 1
; LDSByteSize: 44800 bytes/workgroup (compile time only)
; SGPRBlocks: 2
; VGPRBlocks: 31
; NumSGPRsForWavesPerEU: 18
; NumVGPRsForWavesPerEU: 253
; Occupancy: 4
; WaveLimiterHint : 1
; COMPUTE_PGM_RSRC2:SCRATCH_EN: 0
; COMPUTE_PGM_RSRC2:USER_SGPR: 6
; COMPUTE_PGM_RSRC2:TRAP_HANDLER: 0
; COMPUTE_PGM_RSRC2:TGID_X_EN: 1
; COMPUTE_PGM_RSRC2:TGID_Y_EN: 0
; COMPUTE_PGM_RSRC2:TGID_Z_EN: 0
; COMPUTE_PGM_RSRC2:TIDIG_COMP_CNT: 0
	.text
	.p2alignl 6, 3214868480
	.fill 48, 4, 3214868480
	.type	__hip_cuid_ef3a201ab7b7a02,@object ; @__hip_cuid_ef3a201ab7b7a02
	.section	.bss,"aw",@nobits
	.globl	__hip_cuid_ef3a201ab7b7a02
__hip_cuid_ef3a201ab7b7a02:
	.byte	0                               ; 0x0
	.size	__hip_cuid_ef3a201ab7b7a02, 1

	.ident	"AMD clang version 19.0.0git (https://github.com/RadeonOpenCompute/llvm-project roc-6.4.0 25133 c7fe45cf4b819c5991fe208aaa96edf142730f1d)"
	.section	".note.GNU-stack","",@progbits
	.addrsig
	.addrsig_sym __hip_cuid_ef3a201ab7b7a02
	.amdgpu_metadata
---
amdhsa.kernels:
  - .args:
      - .actual_access:  read_only
        .address_space:  global
        .offset:         0
        .size:           8
        .value_kind:     global_buffer
      - .actual_access:  read_only
        .address_space:  global
        .offset:         8
        .size:           8
        .value_kind:     global_buffer
      - .actual_access:  read_only
        .address_space:  global
        .offset:         16
        .size:           8
        .value_kind:     global_buffer
      - .actual_access:  read_only
        .address_space:  global
        .offset:         24
        .size:           8
        .value_kind:     global_buffer
      - .actual_access:  read_only
        .address_space:  global
        .offset:         32
        .size:           8
        .value_kind:     global_buffer
      - .offset:         40
        .size:           8
        .value_kind:     by_value
      - .address_space:  global
        .offset:         48
        .size:           8
        .value_kind:     global_buffer
      - .address_space:  global
        .offset:         56
        .size:           8
        .value_kind:     global_buffer
      - .address_space:  global
        .offset:         64
        .size:           8
        .value_kind:     global_buffer
      - .address_space:  global
        .offset:         72
        .size:           8
        .value_kind:     global_buffer
      - .offset:         80
        .size:           4
        .value_kind:     by_value
      - .address_space:  global
        .offset:         88
        .size:           8
        .value_kind:     global_buffer
      - .address_space:  global
        .offset:         96
        .size:           8
        .value_kind:     global_buffer
    .group_segment_fixed_size: 44800
    .kernarg_segment_align: 8
    .kernarg_segment_size: 104
    .language:       OpenCL C
    .language_version:
      - 2
      - 0
    .max_flat_workgroup_size: 448
    .name:           bluestein_single_fwd_len11200_dim1_half_op_CI_CI
    .private_segment_fixed_size: 0
    .sgpr_count:     18
    .sgpr_spill_count: 0
    .symbol:         bluestein_single_fwd_len11200_dim1_half_op_CI_CI.kd
    .uniform_work_group_size: 1
    .uses_dynamic_stack: false
    .vgpr_count:     253
    .vgpr_spill_count: 0
    .wavefront_size: 32
    .workgroup_processor_mode: 1
amdhsa.target:   amdgcn-amd-amdhsa--gfx1030
amdhsa.version:
  - 1
  - 2
...

	.end_amdgpu_metadata
